;; amdgpu-corpus repo=ROCm/rocBLAS kind=compiled arch=gfx1030 opt=O3
	.amdgcn_target "amdgcn-amd-amdhsa--gfx1030"
	.amdhsa_code_object_version 6
	.section	.text._ZL19rocblas_syr2_kernelILi128ELi8ELi2EPKfS1_PfEvbiT2_T3_lllS4_lllT4_llli,"axG",@progbits,_ZL19rocblas_syr2_kernelILi128ELi8ELi2EPKfS1_PfEvbiT2_T3_lllS4_lllT4_llli,comdat
	.globl	_ZL19rocblas_syr2_kernelILi128ELi8ELi2EPKfS1_PfEvbiT2_T3_lllS4_lllT4_llli ; -- Begin function _ZL19rocblas_syr2_kernelILi128ELi8ELi2EPKfS1_PfEvbiT2_T3_lllS4_lllT4_llli
	.p2align	8
	.type	_ZL19rocblas_syr2_kernelILi128ELi8ELi2EPKfS1_PfEvbiT2_T3_lllS4_lllT4_llli,@function
_ZL19rocblas_syr2_kernelILi128ELi8ELi2EPKfS1_PfEvbiT2_T3_lllS4_lllT4_llli: ; @_ZL19rocblas_syr2_kernelILi128ELi8ELi2EPKfS1_PfEvbiT2_T3_lllS4_lllT4_llli
; %bb.0:
	s_load_dwordx2 s[0:1], s[4:5], 0x84
	s_waitcnt lgkmcnt(0)
	s_lshr_b32 s2, s0, 16
	s_and_b32 s0, s0, 0xffff
	s_and_b32 s1, s1, 0xffff
	s_mul_i32 s0, s2, s0
	s_mul_i32 s0, s0, s1
	s_cmpk_lg_i32 s0, 0x400
	s_cbranch_scc1 .LBB0_14
; %bb.1:
	s_load_dwordx16 s[12:27], s[4:5], 0x8
	s_mov_b32 s1, 0
	s_waitcnt lgkmcnt(0)
	s_load_dword s9, s[12:13], 0x0
	s_waitcnt lgkmcnt(0)
	v_cmp_eq_f32_e64 s0, s9, 0
	s_and_b32 vcc_lo, exec_lo, s0
	s_cbranch_vccnz .LBB0_14
; %bb.2:
	s_clause 0x2
	s_load_dwordx2 s[2:3], s[4:5], 0x0
	s_load_dwordx2 s[10:11], s[4:5], 0x68
	s_load_dwordx8 s[36:43], s[4:5], 0x48
	v_lshl_add_u32 v8, s7, 3, v1
	s_mul_hi_u32 s5, s20, s8
	s_mul_i32 s4, s20, s8
	s_mul_i32 s0, s21, s8
	v_lshl_add_u32 v0, s6, 8, v0
	v_ashrrev_i32_e32 v3, 31, v8
	v_mul_lo_u32 v9, s27, v8
	v_mad_u64_u32 v[1:2], null, s26, v8, 0
	v_mul_lo_u32 v10, s19, v8
	v_mad_u64_u32 v[4:5], null, s18, v8, 0
	v_mul_lo_u32 v11, s26, v3
	v_mul_lo_u32 v12, s18, v3
	s_mov_b32 s6, -1
	s_waitcnt lgkmcnt(0)
	s_bitcmp1_b32 s2, 0
	s_mul_i32 s2, s11, s8
	s_mul_hi_u32 s7, s10, s8
	s_mul_i32 s10, s10, s8
	s_cselect_b32 s20, -1, 0
	s_add_i32 s11, s7, s2
	v_mul_lo_u32 v3, s40, v3
	s_lshl_b64 s[12:13], s[10:11], 2
	s_xor_b32 s10, s20, -1
	s_add_u32 s2, s38, s12
	s_addc_u32 s7, s39, s13
	s_lshl_b64 s[12:13], s[42:43], 2
	v_mul_lo_u32 v13, s41, v8
	s_add_u32 s11, s2, s12
	s_addc_u32 s12, s7, s13
	s_add_i32 s5, s5, s0
	v_mad_u64_u32 v[6:7], null, s40, v8, 0
	s_lshl_b64 s[4:5], s[4:5], 2
	s_mul_i32 s0, s37, s8
	s_add_u32 s2, s14, s4
	s_addc_u32 s13, s15, s5
	s_lshl_b64 s[4:5], s[16:17], 2
	s_mul_hi_u32 s7, s36, s8
	s_add_u32 s2, s2, s4
	s_mul_i32 s14, s36, s8
	s_addc_u32 s4, s13, s5
	s_add_i32 s15, s7, s0
	v_add3_u32 v2, v2, v11, v9
	v_add3_u32 v5, v5, v12, v10
	v_add3_u32 v7, v7, v3, v13
	s_lshl_b64 s[14:15], s[14:15], 2
	s_add_u32 s0, s22, s14
	s_addc_u32 s7, s23, s15
	s_lshl_b64 s[14:15], s[24:25], 2
	v_lshlrev_b64 v[2:3], 2, v[1:2]
	v_lshlrev_b64 v[4:5], 2, v[4:5]
	;; [unrolled: 1-line block ×3, first 2 shown]
	s_add_u32 s5, s0, s14
	v_cmp_le_i32_e64 s0, s3, v8
	s_addc_u32 s7, s7, s15
	s_and_b32 vcc_lo, exec_lo, s10
	s_cbranch_vccz .LBB0_4
; %bb.3:
	v_cmp_gt_i32_e32 vcc_lo, s3, v0
	v_cmp_le_i32_e64 s1, v8, v0
	s_mov_b32 s6, 0
	s_and_b32 s1, s1, vcc_lo
	s_and_b32 s1, s1, exec_lo
.LBB0_4:
	v_add_co_u32 v2, vcc_lo, s5, v2
	v_add_co_ci_u32_e64 v3, null, s7, v3, vcc_lo
	v_add_co_u32 v4, vcc_lo, s2, v4
	v_add_co_ci_u32_e64 v5, null, s4, v5, vcc_lo
	;; [unrolled: 2-line block ×3, first 2 shown]
	s_andn2_b32 vcc_lo, exec_lo, s6
	s_cbranch_vccz .LBB0_8
; %bb.5:
	v_ashrrev_i32_e32 v1, 31, v0
	s_and_saveexec_b32 s6, s1
	s_cbranch_execnz .LBB0_9
.LBB0_6:
	s_or_b32 exec_lo, exec_lo, s6
	v_add_nc_u32_e32 v9, 0x80, v0
	s_andn2_b32 vcc_lo, exec_lo, s10
	s_cbranch_vccnz .LBB0_10
.LBB0_7:
	v_cmp_gt_i32_e32 vcc_lo, s3, v9
	v_cmp_le_i32_e64 s1, v8, v9
	s_and_b32 s1, vcc_lo, s1
	s_and_b32 s1, s1, exec_lo
	s_cbranch_execz .LBB0_11
	s_branch .LBB0_12
.LBB0_8:
	v_cmp_le_i32_e32 vcc_lo, v0, v8
	s_xor_b32 s6, s0, -1
	s_andn2_b32 s1, s1, exec_lo
	s_and_b32 s6, vcc_lo, s6
	s_and_b32 s6, s6, exec_lo
	s_or_b32 s1, s1, s6
	v_ashrrev_i32_e32 v1, 31, v0
	s_and_saveexec_b32 s6, s1
	s_cbranch_execz .LBB0_6
.LBB0_9:
	v_mul_lo_u32 v13, s27, v0
	v_mul_lo_u32 v14, s26, v1
	v_mad_u64_u32 v[9:10], null, s26, v0, 0
	v_mul_lo_u32 v15, s19, v0
	v_mul_lo_u32 v16, s18, v1
	v_mad_u64_u32 v[11:12], null, s18, v0, 0
	v_add3_u32 v10, v10, v14, v13
	v_add3_u32 v12, v12, v16, v15
	v_lshlrev_b64 v[9:10], 2, v[9:10]
	v_lshlrev_b64 v[11:12], 2, v[11:12]
	v_add_co_u32 v9, vcc_lo, s5, v9
	v_add_co_ci_u32_e64 v10, null, s7, v10, vcc_lo
	v_add_co_u32 v11, vcc_lo, s2, v11
	v_add_co_ci_u32_e64 v12, null, s4, v12, vcc_lo
	global_load_dword v13, v[9:10], off
	v_lshlrev_b64 v[9:10], 2, v[0:1]
	s_clause 0x1
	global_load_dword v11, v[11:12], off
	global_load_dword v12, v[4:5], off
	;; [unrolled: 1-line block ×3, first 2 shown]
	v_add_co_u32 v9, vcc_lo, v6, v9
	v_add_co_ci_u32_e64 v10, null, v7, v10, vcc_lo
	global_load_dword v15, v[9:10], off
	s_waitcnt vmcnt(4)
	v_mul_f32_e32 v13, s9, v13
	s_waitcnt vmcnt(3)
	v_mul_f32_e32 v11, s9, v11
	;; [unrolled: 2-line block ×3, first 2 shown]
	s_waitcnt vmcnt(1)
	v_fmac_f32_e32 v12, v11, v14
	s_waitcnt vmcnt(0)
	v_add_f32_e32 v11, v15, v12
	global_store_dword v[9:10], v11, off
	s_or_b32 exec_lo, exec_lo, s6
	v_add_nc_u32_e32 v9, 0x80, v0
	s_andn2_b32 vcc_lo, exec_lo, s10
	s_cbranch_vccz .LBB0_7
.LBB0_10:
	s_mov_b32 s1, 0
.LBB0_11:
	v_cmp_le_i32_e32 vcc_lo, v9, v8
	s_xor_b32 s0, s0, -1
	s_andn2_b32 s1, s1, exec_lo
	s_and_b32 s0, s0, vcc_lo
	s_and_b32 s0, s0, exec_lo
	s_or_b32 s1, s1, s0
.LBB0_12:
	s_and_saveexec_b32 s0, s1
	s_cbranch_execz .LBB0_14
; %bb.13:
	v_ashrrev_i32_e32 v12, 31, v9
	v_mul_lo_u32 v13, s27, v9
	v_mad_u64_u32 v[10:11], null, s26, v9, 0
	v_mul_lo_u32 v15, s19, v9
	v_mul_lo_u32 v14, s26, v12
	v_mad_u64_u32 v[8:9], null, s18, v9, 0
	v_mul_lo_u32 v12, s18, v12
	v_lshlrev_b64 v[0:1], 2, v[0:1]
	v_add3_u32 v11, v11, v14, v13
	v_add3_u32 v9, v9, v12, v15
	v_lshlrev_b64 v[10:11], 2, v[10:11]
	v_lshlrev_b64 v[8:9], 2, v[8:9]
	v_add_co_u32 v10, vcc_lo, s5, v10
	v_add_co_ci_u32_e64 v11, null, s7, v11, vcc_lo
	v_add_co_u32 v8, vcc_lo, s2, v8
	v_add_co_ci_u32_e64 v9, null, s4, v9, vcc_lo
	global_load_dword v10, v[10:11], off
	s_clause 0x1
	global_load_dword v8, v[8:9], off
	global_load_dword v4, v[4:5], off
	;; [unrolled: 1-line block ×3, first 2 shown]
	v_add_co_u32 v0, vcc_lo, v6, v0
	v_add_co_ci_u32_e64 v1, null, v7, v1, vcc_lo
	global_load_dword v3, v[0:1], off offset:512
	s_waitcnt vmcnt(4)
	v_mul_f32_e32 v5, s9, v10
	s_waitcnt vmcnt(3)
	v_mul_f32_e32 v6, s9, v8
	;; [unrolled: 2-line block ×3, first 2 shown]
	s_waitcnt vmcnt(1)
	v_fmac_f32_e32 v4, v6, v2
	s_waitcnt vmcnt(0)
	v_add_f32_e32 v2, v3, v4
	global_store_dword v[0:1], v2, off offset:512
.LBB0_14:
	s_endpgm
	.section	.rodata,"a",@progbits
	.p2align	6, 0x0
	.amdhsa_kernel _ZL19rocblas_syr2_kernelILi128ELi8ELi2EPKfS1_PfEvbiT2_T3_lllS4_lllT4_llli
		.amdhsa_group_segment_fixed_size 0
		.amdhsa_private_segment_fixed_size 0
		.amdhsa_kernarg_size 376
		.amdhsa_user_sgpr_count 6
		.amdhsa_user_sgpr_private_segment_buffer 1
		.amdhsa_user_sgpr_dispatch_ptr 0
		.amdhsa_user_sgpr_queue_ptr 0
		.amdhsa_user_sgpr_kernarg_segment_ptr 1
		.amdhsa_user_sgpr_dispatch_id 0
		.amdhsa_user_sgpr_flat_scratch_init 0
		.amdhsa_user_sgpr_private_segment_size 0
		.amdhsa_wavefront_size32 1
		.amdhsa_uses_dynamic_stack 0
		.amdhsa_system_sgpr_private_segment_wavefront_offset 0
		.amdhsa_system_sgpr_workgroup_id_x 1
		.amdhsa_system_sgpr_workgroup_id_y 1
		.amdhsa_system_sgpr_workgroup_id_z 1
		.amdhsa_system_sgpr_workgroup_info 0
		.amdhsa_system_vgpr_workitem_id 1
		.amdhsa_next_free_vgpr 17
		.amdhsa_next_free_sgpr 44
		.amdhsa_reserve_vcc 1
		.amdhsa_reserve_flat_scratch 0
		.amdhsa_float_round_mode_32 0
		.amdhsa_float_round_mode_16_64 0
		.amdhsa_float_denorm_mode_32 3
		.amdhsa_float_denorm_mode_16_64 3
		.amdhsa_dx10_clamp 1
		.amdhsa_ieee_mode 1
		.amdhsa_fp16_overflow 0
		.amdhsa_workgroup_processor_mode 1
		.amdhsa_memory_ordered 1
		.amdhsa_forward_progress 1
		.amdhsa_shared_vgpr_count 0
		.amdhsa_exception_fp_ieee_invalid_op 0
		.amdhsa_exception_fp_denorm_src 0
		.amdhsa_exception_fp_ieee_div_zero 0
		.amdhsa_exception_fp_ieee_overflow 0
		.amdhsa_exception_fp_ieee_underflow 0
		.amdhsa_exception_fp_ieee_inexact 0
		.amdhsa_exception_int_div_zero 0
	.end_amdhsa_kernel
	.section	.text._ZL19rocblas_syr2_kernelILi128ELi8ELi2EPKfS1_PfEvbiT2_T3_lllS4_lllT4_llli,"axG",@progbits,_ZL19rocblas_syr2_kernelILi128ELi8ELi2EPKfS1_PfEvbiT2_T3_lllS4_lllT4_llli,comdat
.Lfunc_end0:
	.size	_ZL19rocblas_syr2_kernelILi128ELi8ELi2EPKfS1_PfEvbiT2_T3_lllS4_lllT4_llli, .Lfunc_end0-_ZL19rocblas_syr2_kernelILi128ELi8ELi2EPKfS1_PfEvbiT2_T3_lllS4_lllT4_llli
                                        ; -- End function
	.set _ZL19rocblas_syr2_kernelILi128ELi8ELi2EPKfS1_PfEvbiT2_T3_lllS4_lllT4_llli.num_vgpr, 17
	.set _ZL19rocblas_syr2_kernelILi128ELi8ELi2EPKfS1_PfEvbiT2_T3_lllS4_lllT4_llli.num_agpr, 0
	.set _ZL19rocblas_syr2_kernelILi128ELi8ELi2EPKfS1_PfEvbiT2_T3_lllS4_lllT4_llli.numbered_sgpr, 44
	.set _ZL19rocblas_syr2_kernelILi128ELi8ELi2EPKfS1_PfEvbiT2_T3_lllS4_lllT4_llli.num_named_barrier, 0
	.set _ZL19rocblas_syr2_kernelILi128ELi8ELi2EPKfS1_PfEvbiT2_T3_lllS4_lllT4_llli.private_seg_size, 0
	.set _ZL19rocblas_syr2_kernelILi128ELi8ELi2EPKfS1_PfEvbiT2_T3_lllS4_lllT4_llli.uses_vcc, 1
	.set _ZL19rocblas_syr2_kernelILi128ELi8ELi2EPKfS1_PfEvbiT2_T3_lllS4_lllT4_llli.uses_flat_scratch, 0
	.set _ZL19rocblas_syr2_kernelILi128ELi8ELi2EPKfS1_PfEvbiT2_T3_lllS4_lllT4_llli.has_dyn_sized_stack, 0
	.set _ZL19rocblas_syr2_kernelILi128ELi8ELi2EPKfS1_PfEvbiT2_T3_lllS4_lllT4_llli.has_recursion, 0
	.set _ZL19rocblas_syr2_kernelILi128ELi8ELi2EPKfS1_PfEvbiT2_T3_lllS4_lllT4_llli.has_indirect_call, 0
	.section	.AMDGPU.csdata,"",@progbits
; Kernel info:
; codeLenInByte = 1112
; TotalNumSgprs: 46
; NumVgprs: 17
; ScratchSize: 0
; MemoryBound: 0
; FloatMode: 240
; IeeeMode: 1
; LDSByteSize: 0 bytes/workgroup (compile time only)
; SGPRBlocks: 0
; VGPRBlocks: 2
; NumSGPRsForWavesPerEU: 46
; NumVGPRsForWavesPerEU: 17
; Occupancy: 16
; WaveLimiterHint : 1
; COMPUTE_PGM_RSRC2:SCRATCH_EN: 0
; COMPUTE_PGM_RSRC2:USER_SGPR: 6
; COMPUTE_PGM_RSRC2:TRAP_HANDLER: 0
; COMPUTE_PGM_RSRC2:TGID_X_EN: 1
; COMPUTE_PGM_RSRC2:TGID_Y_EN: 1
; COMPUTE_PGM_RSRC2:TGID_Z_EN: 1
; COMPUTE_PGM_RSRC2:TIDIG_COMP_CNT: 1
	.section	.text._ZL19rocblas_syr2_kernelILi128ELi8ELi2EfPKfPfEvbiT2_T3_lllS4_lllT4_llli,"axG",@progbits,_ZL19rocblas_syr2_kernelILi128ELi8ELi2EfPKfPfEvbiT2_T3_lllS4_lllT4_llli,comdat
	.globl	_ZL19rocblas_syr2_kernelILi128ELi8ELi2EfPKfPfEvbiT2_T3_lllS4_lllT4_llli ; -- Begin function _ZL19rocblas_syr2_kernelILi128ELi8ELi2EfPKfPfEvbiT2_T3_lllS4_lllT4_llli
	.p2align	8
	.type	_ZL19rocblas_syr2_kernelILi128ELi8ELi2EfPKfPfEvbiT2_T3_lllS4_lllT4_llli,@function
_ZL19rocblas_syr2_kernelILi128ELi8ELi2EfPKfPfEvbiT2_T3_lllS4_lllT4_llli: ; @_ZL19rocblas_syr2_kernelILi128ELi8ELi2EfPKfPfEvbiT2_T3_lllS4_lllT4_llli
; %bb.0:
	s_clause 0x1
	s_load_dwordx2 s[0:1], s[4:5], 0x84
	s_load_dwordx4 s[28:31], s[4:5], 0x0
	s_waitcnt lgkmcnt(0)
	s_lshr_b32 s2, s0, 16
	s_and_b32 s0, s0, 0xffff
	s_and_b32 s1, s1, 0xffff
	s_mul_i32 s0, s2, s0
	s_mul_i32 s0, s0, s1
	v_cmp_eq_f32_e64 s1, s30, 0
	s_cmpk_lg_i32 s0, 0x400
	s_cselect_b32 s0, -1, 0
	s_or_b32 s0, s1, s0
	s_mov_b32 s1, 0
	s_and_b32 vcc_lo, exec_lo, s0
	s_cbranch_vccnz .LBB1_13
; %bb.1:
	s_clause 0x1
	s_load_dwordx8 s[36:43], s[4:5], 0x50
	s_load_dwordx16 s[12:27], s[4:5], 0x10
	s_bitcmp1_b32 s28, 0
	v_lshl_add_u32 v8, s7, 3, v1
	s_cselect_b32 s0, -1, 0
	v_lshl_add_u32 v0, s6, 8, v0
	s_xor_b32 s7, s0, -1
	s_mov_b32 s6, -1
	v_ashrrev_i32_e32 v3, 31, v8
	s_waitcnt lgkmcnt(0)
	s_mul_i32 s0, s43, s8
	s_mul_hi_u32 s3, s42, s8
	s_mul_i32 s2, s42, s8
	s_add_i32 s3, s3, s0
	s_mul_i32 s5, s19, s8
	s_lshl_b64 s[2:3], s[2:3], 2
	s_mul_hi_u32 s11, s18, s8
	s_add_u32 s0, s36, s2
	s_addc_u32 s9, s37, s3
	s_lshl_b64 s[2:3], s[40:41], 2
	s_mul_i32 s4, s18, s8
	s_mul_i32 s18, s27, s8
	s_mul_hi_u32 s19, s26, s8
	s_mul_i32 s10, s26, s8
	s_add_u32 s8, s0, s2
	s_addc_u32 s9, s9, s3
	s_add_i32 s5, s11, s5
	v_mul_lo_u32 v9, s24, v3
	v_mul_lo_u32 v10, s25, v8
	v_mad_u64_u32 v[1:2], null, s24, v8, 0
	v_mul_lo_u32 v11, s16, v3
	v_mul_lo_u32 v12, s17, v8
	v_mad_u64_u32 v[4:5], null, s16, v8, 0
	;; [unrolled: 3-line block ×3, first 2 shown]
	s_lshl_b64 s[2:3], s[4:5], 2
	v_add3_u32 v2, v2, v9, v10
	s_add_u32 s0, s12, s2
	s_addc_u32 s4, s13, s3
	s_lshl_b64 s[2:3], s[14:15], 2
	v_add3_u32 v5, v5, v11, v12
	s_add_u32 s2, s0, s2
	s_addc_u32 s3, s4, s3
	s_add_i32 s11, s19, s18
	v_add3_u32 v7, v7, v3, v13
	s_lshl_b64 s[4:5], s[10:11], 2
	v_lshlrev_b64 v[2:3], 2, v[1:2]
	s_add_u32 s0, s20, s4
	s_addc_u32 s10, s21, s5
	s_lshl_b64 s[4:5], s[22:23], 2
	v_lshlrev_b64 v[4:5], 2, v[4:5]
	v_lshlrev_b64 v[6:7], 2, v[6:7]
	s_add_u32 s4, s0, s4
	v_cmp_le_i32_e64 s0, s29, v8
	s_addc_u32 s5, s10, s5
	s_and_b32 vcc_lo, exec_lo, s7
	s_cbranch_vccz .LBB1_3
; %bb.2:
	v_cmp_gt_i32_e32 vcc_lo, s29, v0
	v_cmp_le_i32_e64 s1, v8, v0
	s_mov_b32 s6, 0
	s_and_b32 s1, s1, vcc_lo
	s_and_b32 s1, s1, exec_lo
.LBB1_3:
	v_add_co_u32 v2, vcc_lo, s4, v2
	v_add_co_ci_u32_e64 v3, null, s5, v3, vcc_lo
	v_add_co_u32 v4, vcc_lo, s2, v4
	v_add_co_ci_u32_e64 v5, null, s3, v5, vcc_lo
	;; [unrolled: 2-line block ×3, first 2 shown]
	s_andn2_b32 vcc_lo, exec_lo, s6
	s_cbranch_vccz .LBB1_7
; %bb.4:
	v_ashrrev_i32_e32 v1, 31, v0
	s_and_saveexec_b32 s6, s1
	s_cbranch_execnz .LBB1_8
.LBB1_5:
	s_or_b32 exec_lo, exec_lo, s6
	v_add_nc_u32_e32 v9, 0x80, v0
	s_andn2_b32 vcc_lo, exec_lo, s7
	s_cbranch_vccnz .LBB1_9
.LBB1_6:
	v_cmp_gt_i32_e32 vcc_lo, s29, v9
	v_cmp_le_i32_e64 s1, v8, v9
	s_and_b32 s1, vcc_lo, s1
	s_and_b32 s1, s1, exec_lo
	s_cbranch_execz .LBB1_10
	s_branch .LBB1_11
.LBB1_7:
	v_cmp_le_i32_e32 vcc_lo, v0, v8
	s_xor_b32 s6, s0, -1
	s_andn2_b32 s1, s1, exec_lo
	s_and_b32 s6, vcc_lo, s6
	s_and_b32 s6, s6, exec_lo
	s_or_b32 s1, s1, s6
	v_ashrrev_i32_e32 v1, 31, v0
	s_and_saveexec_b32 s6, s1
	s_cbranch_execz .LBB1_5
.LBB1_8:
	v_mul_lo_u32 v13, s25, v0
	v_mul_lo_u32 v14, s24, v1
	v_mad_u64_u32 v[9:10], null, s24, v0, 0
	v_mul_lo_u32 v15, s17, v0
	v_mul_lo_u32 v16, s16, v1
	v_mad_u64_u32 v[11:12], null, s16, v0, 0
	v_add3_u32 v10, v10, v14, v13
	v_add3_u32 v12, v12, v16, v15
	v_lshlrev_b64 v[9:10], 2, v[9:10]
	v_lshlrev_b64 v[11:12], 2, v[11:12]
	v_add_co_u32 v9, vcc_lo, s4, v9
	v_add_co_ci_u32_e64 v10, null, s5, v10, vcc_lo
	v_add_co_u32 v11, vcc_lo, s2, v11
	v_add_co_ci_u32_e64 v12, null, s3, v12, vcc_lo
	global_load_dword v13, v[9:10], off
	v_lshlrev_b64 v[9:10], 2, v[0:1]
	s_clause 0x1
	global_load_dword v11, v[11:12], off
	global_load_dword v12, v[4:5], off
	;; [unrolled: 1-line block ×3, first 2 shown]
	v_add_co_u32 v9, vcc_lo, v6, v9
	v_add_co_ci_u32_e64 v10, null, v7, v10, vcc_lo
	global_load_dword v15, v[9:10], off
	s_waitcnt vmcnt(4)
	v_mul_f32_e32 v13, s30, v13
	s_waitcnt vmcnt(3)
	v_mul_f32_e32 v11, s30, v11
	;; [unrolled: 2-line block ×3, first 2 shown]
	s_waitcnt vmcnt(1)
	v_fmac_f32_e32 v12, v11, v14
	s_waitcnt vmcnt(0)
	v_add_f32_e32 v11, v15, v12
	global_store_dword v[9:10], v11, off
	s_or_b32 exec_lo, exec_lo, s6
	v_add_nc_u32_e32 v9, 0x80, v0
	s_andn2_b32 vcc_lo, exec_lo, s7
	s_cbranch_vccz .LBB1_6
.LBB1_9:
	s_mov_b32 s1, 0
.LBB1_10:
	v_cmp_le_i32_e32 vcc_lo, v9, v8
	s_xor_b32 s0, s0, -1
	s_andn2_b32 s1, s1, exec_lo
	s_and_b32 s0, s0, vcc_lo
	s_and_b32 s0, s0, exec_lo
	s_or_b32 s1, s1, s0
.LBB1_11:
	s_and_saveexec_b32 s0, s1
	s_cbranch_execz .LBB1_13
; %bb.12:
	v_ashrrev_i32_e32 v12, 31, v9
	v_mul_lo_u32 v13, s25, v9
	v_mad_u64_u32 v[10:11], null, s24, v9, 0
	v_mul_lo_u32 v15, s17, v9
	v_mul_lo_u32 v14, s24, v12
	v_mad_u64_u32 v[8:9], null, s16, v9, 0
	v_mul_lo_u32 v12, s16, v12
	v_lshlrev_b64 v[0:1], 2, v[0:1]
	v_add3_u32 v11, v11, v14, v13
	v_add3_u32 v9, v9, v12, v15
	v_lshlrev_b64 v[10:11], 2, v[10:11]
	v_lshlrev_b64 v[8:9], 2, v[8:9]
	v_add_co_u32 v10, vcc_lo, s4, v10
	v_add_co_ci_u32_e64 v11, null, s5, v11, vcc_lo
	v_add_co_u32 v8, vcc_lo, s2, v8
	v_add_co_ci_u32_e64 v9, null, s3, v9, vcc_lo
	global_load_dword v10, v[10:11], off
	s_clause 0x1
	global_load_dword v8, v[8:9], off
	global_load_dword v4, v[4:5], off
	;; [unrolled: 1-line block ×3, first 2 shown]
	v_add_co_u32 v0, vcc_lo, v6, v0
	v_add_co_ci_u32_e64 v1, null, v7, v1, vcc_lo
	global_load_dword v3, v[0:1], off offset:512
	s_waitcnt vmcnt(4)
	v_mul_f32_e32 v5, s30, v10
	s_waitcnt vmcnt(3)
	v_mul_f32_e32 v6, s30, v8
	;; [unrolled: 2-line block ×3, first 2 shown]
	s_waitcnt vmcnt(1)
	v_fmac_f32_e32 v4, v6, v2
	s_waitcnt vmcnt(0)
	v_add_f32_e32 v2, v3, v4
	global_store_dword v[0:1], v2, off offset:512
.LBB1_13:
	s_endpgm
	.section	.rodata,"a",@progbits
	.p2align	6, 0x0
	.amdhsa_kernel _ZL19rocblas_syr2_kernelILi128ELi8ELi2EfPKfPfEvbiT2_T3_lllS4_lllT4_llli
		.amdhsa_group_segment_fixed_size 0
		.amdhsa_private_segment_fixed_size 0
		.amdhsa_kernarg_size 376
		.amdhsa_user_sgpr_count 6
		.amdhsa_user_sgpr_private_segment_buffer 1
		.amdhsa_user_sgpr_dispatch_ptr 0
		.amdhsa_user_sgpr_queue_ptr 0
		.amdhsa_user_sgpr_kernarg_segment_ptr 1
		.amdhsa_user_sgpr_dispatch_id 0
		.amdhsa_user_sgpr_flat_scratch_init 0
		.amdhsa_user_sgpr_private_segment_size 0
		.amdhsa_wavefront_size32 1
		.amdhsa_uses_dynamic_stack 0
		.amdhsa_system_sgpr_private_segment_wavefront_offset 0
		.amdhsa_system_sgpr_workgroup_id_x 1
		.amdhsa_system_sgpr_workgroup_id_y 1
		.amdhsa_system_sgpr_workgroup_id_z 1
		.amdhsa_system_sgpr_workgroup_info 0
		.amdhsa_system_vgpr_workitem_id 1
		.amdhsa_next_free_vgpr 17
		.amdhsa_next_free_sgpr 44
		.amdhsa_reserve_vcc 1
		.amdhsa_reserve_flat_scratch 0
		.amdhsa_float_round_mode_32 0
		.amdhsa_float_round_mode_16_64 0
		.amdhsa_float_denorm_mode_32 3
		.amdhsa_float_denorm_mode_16_64 3
		.amdhsa_dx10_clamp 1
		.amdhsa_ieee_mode 1
		.amdhsa_fp16_overflow 0
		.amdhsa_workgroup_processor_mode 1
		.amdhsa_memory_ordered 1
		.amdhsa_forward_progress 1
		.amdhsa_shared_vgpr_count 0
		.amdhsa_exception_fp_ieee_invalid_op 0
		.amdhsa_exception_fp_denorm_src 0
		.amdhsa_exception_fp_ieee_div_zero 0
		.amdhsa_exception_fp_ieee_overflow 0
		.amdhsa_exception_fp_ieee_underflow 0
		.amdhsa_exception_fp_ieee_inexact 0
		.amdhsa_exception_int_div_zero 0
	.end_amdhsa_kernel
	.section	.text._ZL19rocblas_syr2_kernelILi128ELi8ELi2EfPKfPfEvbiT2_T3_lllS4_lllT4_llli,"axG",@progbits,_ZL19rocblas_syr2_kernelILi128ELi8ELi2EfPKfPfEvbiT2_T3_lllS4_lllT4_llli,comdat
.Lfunc_end1:
	.size	_ZL19rocblas_syr2_kernelILi128ELi8ELi2EfPKfPfEvbiT2_T3_lllS4_lllT4_llli, .Lfunc_end1-_ZL19rocblas_syr2_kernelILi128ELi8ELi2EfPKfPfEvbiT2_T3_lllS4_lllT4_llli
                                        ; -- End function
	.set _ZL19rocblas_syr2_kernelILi128ELi8ELi2EfPKfPfEvbiT2_T3_lllS4_lllT4_llli.num_vgpr, 17
	.set _ZL19rocblas_syr2_kernelILi128ELi8ELi2EfPKfPfEvbiT2_T3_lllS4_lllT4_llli.num_agpr, 0
	.set _ZL19rocblas_syr2_kernelILi128ELi8ELi2EfPKfPfEvbiT2_T3_lllS4_lllT4_llli.numbered_sgpr, 44
	.set _ZL19rocblas_syr2_kernelILi128ELi8ELi2EfPKfPfEvbiT2_T3_lllS4_lllT4_llli.num_named_barrier, 0
	.set _ZL19rocblas_syr2_kernelILi128ELi8ELi2EfPKfPfEvbiT2_T3_lllS4_lllT4_llli.private_seg_size, 0
	.set _ZL19rocblas_syr2_kernelILi128ELi8ELi2EfPKfPfEvbiT2_T3_lllS4_lllT4_llli.uses_vcc, 1
	.set _ZL19rocblas_syr2_kernelILi128ELi8ELi2EfPKfPfEvbiT2_T3_lllS4_lllT4_llli.uses_flat_scratch, 0
	.set _ZL19rocblas_syr2_kernelILi128ELi8ELi2EfPKfPfEvbiT2_T3_lllS4_lllT4_llli.has_dyn_sized_stack, 0
	.set _ZL19rocblas_syr2_kernelILi128ELi8ELi2EfPKfPfEvbiT2_T3_lllS4_lllT4_llli.has_recursion, 0
	.set _ZL19rocblas_syr2_kernelILi128ELi8ELi2EfPKfPfEvbiT2_T3_lllS4_lllT4_llli.has_indirect_call, 0
	.section	.AMDGPU.csdata,"",@progbits
; Kernel info:
; codeLenInByte = 1096
; TotalNumSgprs: 46
; NumVgprs: 17
; ScratchSize: 0
; MemoryBound: 0
; FloatMode: 240
; IeeeMode: 1
; LDSByteSize: 0 bytes/workgroup (compile time only)
; SGPRBlocks: 0
; VGPRBlocks: 2
; NumSGPRsForWavesPerEU: 46
; NumVGPRsForWavesPerEU: 17
; Occupancy: 16
; WaveLimiterHint : 0
; COMPUTE_PGM_RSRC2:SCRATCH_EN: 0
; COMPUTE_PGM_RSRC2:USER_SGPR: 6
; COMPUTE_PGM_RSRC2:TRAP_HANDLER: 0
; COMPUTE_PGM_RSRC2:TGID_X_EN: 1
; COMPUTE_PGM_RSRC2:TGID_Y_EN: 1
; COMPUTE_PGM_RSRC2:TGID_Z_EN: 1
; COMPUTE_PGM_RSRC2:TIDIG_COMP_CNT: 1
	.section	.text._ZL19rocblas_syr2_kernelILi128ELi8ELi1EPKdS1_PdEvbiT2_T3_lllS4_lllT4_llli,"axG",@progbits,_ZL19rocblas_syr2_kernelILi128ELi8ELi1EPKdS1_PdEvbiT2_T3_lllS4_lllT4_llli,comdat
	.globl	_ZL19rocblas_syr2_kernelILi128ELi8ELi1EPKdS1_PdEvbiT2_T3_lllS4_lllT4_llli ; -- Begin function _ZL19rocblas_syr2_kernelILi128ELi8ELi1EPKdS1_PdEvbiT2_T3_lllS4_lllT4_llli
	.p2align	8
	.type	_ZL19rocblas_syr2_kernelILi128ELi8ELi1EPKdS1_PdEvbiT2_T3_lllS4_lllT4_llli,@function
_ZL19rocblas_syr2_kernelILi128ELi8ELi1EPKdS1_PdEvbiT2_T3_lllS4_lllT4_llli: ; @_ZL19rocblas_syr2_kernelILi128ELi8ELi1EPKdS1_PdEvbiT2_T3_lllS4_lllT4_llli
; %bb.0:
	s_load_dwordx2 s[0:1], s[4:5], 0x84
	s_waitcnt lgkmcnt(0)
	s_lshr_b32 s2, s0, 16
	s_and_b32 s0, s0, 0xffff
	s_and_b32 s1, s1, 0xffff
	s_mul_i32 s0, s2, s0
	s_mul_i32 s0, s0, s1
	s_cmpk_lg_i32 s0, 0x400
	s_cbranch_scc1 .LBB2_6
; %bb.1:
	s_load_dwordx16 s[12:27], s[4:5], 0x8
	s_waitcnt lgkmcnt(0)
	s_load_dwordx2 s[10:11], s[12:13], 0x0
	s_waitcnt lgkmcnt(0)
	v_cmp_eq_f64_e64 s0, s[10:11], 0
	s_and_b32 vcc_lo, exec_lo, s0
	s_cbranch_vccnz .LBB2_6
; %bb.2:
	s_load_dwordx2 s[0:1], s[4:5], 0x0
	v_lshl_add_u32 v0, s6, 7, v0
	v_lshl_add_u32 v2, s7, 3, v1
	s_mov_b32 s2, 0
	s_waitcnt lgkmcnt(0)
	s_bitcmp0_b32 s0, 0
	s_mov_b32 s0, -1
	s_cbranch_scc1 .LBB2_7
; %bb.3:
	s_andn2_b32 vcc_lo, exec_lo, s0
	s_cbranch_vccz .LBB2_8
.LBB2_4:
	s_and_saveexec_b32 s0, s2
	s_cbranch_execz .LBB2_6
.LBB2_5:
	s_clause 0x1
	s_load_dwordx2 s[12:13], s[4:5], 0x68
	s_load_dwordx8 s[0:7], s[4:5], 0x48
	v_mul_lo_u32 v9, s19, v2
	v_mul_lo_u32 v10, s19, v0
	v_ashrrev_i32_e32 v1, 31, v0
	s_mul_i32 s9, s21, s8
	s_mul_hi_u32 s21, s20, s8
	v_mul_lo_u32 v7, s27, v0
	v_mad_u64_u32 v[5:6], null, s26, v0, 0
	v_mul_lo_u32 v8, s26, v1
	s_mul_i32 s20, s20, s8
	v_ashrrev_i32_e32 v11, 31, v2
	v_mad_u64_u32 v[3:4], null, s18, v2, 0
	v_mul_lo_u32 v13, s18, v1
	v_mul_lo_u32 v12, s18, v11
	v_add3_u32 v6, v6, v8, v7
	v_mad_u64_u32 v[7:8], null, s18, v0, 0
	s_waitcnt lgkmcnt(0)
	s_mul_i32 s13, s13, s8
	s_mul_hi_u32 s19, s12, s8
	s_mul_i32 s12, s12, s8
	s_add_i32 s13, s19, s13
	s_mul_i32 s1, s1, s8
	s_lshl_b64 s[12:13], s[12:13], 3
	v_lshlrev_b64 v[5:6], 3, v[5:6]
	s_add_u32 s12, s2, s12
	s_addc_u32 s13, s3, s13
	s_lshl_b64 s[2:3], s[6:7], 3
	v_add3_u32 v4, v4, v12, v9
	s_add_u32 s6, s12, s2
	s_addc_u32 s7, s13, s3
	s_add_i32 s21, s21, s9
	s_mul_hi_u32 s9, s0, s8
	s_lshl_b64 s[2:3], s[20:21], 3
	s_mul_i32 s0, s0, s8
	s_add_u32 s12, s14, s2
	s_addc_u32 s13, s15, s3
	s_lshl_b64 s[2:3], s[16:17], 3
	v_add3_u32 v8, v8, v13, v10
	s_add_u32 s2, s12, s2
	s_addc_u32 s3, s13, s3
	s_add_i32 s1, s9, s1
	v_lshlrev_b64 v[3:4], 3, v[3:4]
	s_lshl_b64 s[0:1], s[0:1], 3
	v_lshlrev_b64 v[7:8], 3, v[7:8]
	s_add_u32 s8, s22, s0
	s_addc_u32 s9, s23, s1
	s_lshl_b64 s[0:1], s[24:25], 3
	v_mul_lo_u32 v12, s27, v2
	s_add_u32 s0, s8, s0
	s_addc_u32 s1, s9, s1
	v_add_co_u32 v5, vcc_lo, s0, v5
	v_add_co_ci_u32_e64 v6, null, s1, v6, vcc_lo
	v_add_co_u32 v3, vcc_lo, s2, v3
	v_add_co_ci_u32_e64 v4, null, s3, v4, vcc_lo
	global_load_dwordx2 v[5:6], v[5:6], off
	v_add_co_u32 v7, vcc_lo, s2, v7
	v_add_co_ci_u32_e64 v8, null, s3, v8, vcc_lo
	v_mul_lo_u32 v13, s26, v11
	v_mad_u64_u32 v[9:10], null, s26, v2, 0
	s_clause 0x1
	global_load_dwordx2 v[7:8], v[7:8], off
	global_load_dwordx2 v[3:4], v[3:4], off
	v_mul_lo_u32 v14, s4, v11
	v_lshlrev_b64 v[0:1], 3, v[0:1]
	v_add3_u32 v10, v10, v13, v12
	v_mul_lo_u32 v13, s5, v2
	v_mad_u64_u32 v[11:12], null, s4, v2, 0
	v_lshlrev_b64 v[9:10], 3, v[9:10]
	v_add3_u32 v12, v12, v14, v13
	v_add_co_u32 v9, vcc_lo, s0, v9
	v_add_co_ci_u32_e64 v10, null, s1, v10, vcc_lo
	v_lshlrev_b64 v[11:12], 3, v[11:12]
	global_load_dwordx2 v[9:10], v[9:10], off
	v_add_co_u32 v2, vcc_lo, s6, v11
	v_add_co_ci_u32_e64 v11, null, s7, v12, vcc_lo
	v_add_co_u32 v0, vcc_lo, v2, v0
	v_add_co_ci_u32_e64 v1, null, v11, v1, vcc_lo
	global_load_dwordx2 v[11:12], v[0:1], off
	s_waitcnt vmcnt(4)
	v_mul_f64 v[5:6], s[10:11], v[5:6]
	s_waitcnt vmcnt(3)
	v_mul_f64 v[7:8], s[10:11], v[7:8]
	;; [unrolled: 2-line block ×3, first 2 shown]
	s_waitcnt vmcnt(1)
	v_fma_f64 v[2:3], v[7:8], v[9:10], v[2:3]
	s_waitcnt vmcnt(0)
	v_add_f64 v[2:3], v[11:12], v[2:3]
	global_store_dwordx2 v[0:1], v[2:3], off
.LBB2_6:
	s_endpgm
.LBB2_7:
	v_cmp_gt_i32_e32 vcc_lo, s1, v0
	v_cmp_le_i32_e64 s0, v2, v0
	s_and_b32 s2, s0, vcc_lo
	s_and_b32 s2, s2, exec_lo
	s_cbranch_execnz .LBB2_4
.LBB2_8:
	v_cmp_gt_i32_e32 vcc_lo, s1, v2
	v_cmp_le_i32_e64 s0, v0, v2
	s_andn2_b32 s1, s2, exec_lo
	s_and_b32 s0, s0, vcc_lo
	s_and_b32 s0, s0, exec_lo
	s_or_b32 s2, s1, s0
	s_and_saveexec_b32 s0, s2
	s_cbranch_execnz .LBB2_5
	s_branch .LBB2_6
	.section	.rodata,"a",@progbits
	.p2align	6, 0x0
	.amdhsa_kernel _ZL19rocblas_syr2_kernelILi128ELi8ELi1EPKdS1_PdEvbiT2_T3_lllS4_lllT4_llli
		.amdhsa_group_segment_fixed_size 0
		.amdhsa_private_segment_fixed_size 0
		.amdhsa_kernarg_size 376
		.amdhsa_user_sgpr_count 6
		.amdhsa_user_sgpr_private_segment_buffer 1
		.amdhsa_user_sgpr_dispatch_ptr 0
		.amdhsa_user_sgpr_queue_ptr 0
		.amdhsa_user_sgpr_kernarg_segment_ptr 1
		.amdhsa_user_sgpr_dispatch_id 0
		.amdhsa_user_sgpr_flat_scratch_init 0
		.amdhsa_user_sgpr_private_segment_size 0
		.amdhsa_wavefront_size32 1
		.amdhsa_uses_dynamic_stack 0
		.amdhsa_system_sgpr_private_segment_wavefront_offset 0
		.amdhsa_system_sgpr_workgroup_id_x 1
		.amdhsa_system_sgpr_workgroup_id_y 1
		.amdhsa_system_sgpr_workgroup_id_z 1
		.amdhsa_system_sgpr_workgroup_info 0
		.amdhsa_system_vgpr_workitem_id 1
		.amdhsa_next_free_vgpr 15
		.amdhsa_next_free_sgpr 28
		.amdhsa_reserve_vcc 1
		.amdhsa_reserve_flat_scratch 0
		.amdhsa_float_round_mode_32 0
		.amdhsa_float_round_mode_16_64 0
		.amdhsa_float_denorm_mode_32 3
		.amdhsa_float_denorm_mode_16_64 3
		.amdhsa_dx10_clamp 1
		.amdhsa_ieee_mode 1
		.amdhsa_fp16_overflow 0
		.amdhsa_workgroup_processor_mode 1
		.amdhsa_memory_ordered 1
		.amdhsa_forward_progress 1
		.amdhsa_shared_vgpr_count 0
		.amdhsa_exception_fp_ieee_invalid_op 0
		.amdhsa_exception_fp_denorm_src 0
		.amdhsa_exception_fp_ieee_div_zero 0
		.amdhsa_exception_fp_ieee_overflow 0
		.amdhsa_exception_fp_ieee_underflow 0
		.amdhsa_exception_fp_ieee_inexact 0
		.amdhsa_exception_int_div_zero 0
	.end_amdhsa_kernel
	.section	.text._ZL19rocblas_syr2_kernelILi128ELi8ELi1EPKdS1_PdEvbiT2_T3_lllS4_lllT4_llli,"axG",@progbits,_ZL19rocblas_syr2_kernelILi128ELi8ELi1EPKdS1_PdEvbiT2_T3_lllS4_lllT4_llli,comdat
.Lfunc_end2:
	.size	_ZL19rocblas_syr2_kernelILi128ELi8ELi1EPKdS1_PdEvbiT2_T3_lllS4_lllT4_llli, .Lfunc_end2-_ZL19rocblas_syr2_kernelILi128ELi8ELi1EPKdS1_PdEvbiT2_T3_lllS4_lllT4_llli
                                        ; -- End function
	.set _ZL19rocblas_syr2_kernelILi128ELi8ELi1EPKdS1_PdEvbiT2_T3_lllS4_lllT4_llli.num_vgpr, 15
	.set _ZL19rocblas_syr2_kernelILi128ELi8ELi1EPKdS1_PdEvbiT2_T3_lllS4_lllT4_llli.num_agpr, 0
	.set _ZL19rocblas_syr2_kernelILi128ELi8ELi1EPKdS1_PdEvbiT2_T3_lllS4_lllT4_llli.numbered_sgpr, 28
	.set _ZL19rocblas_syr2_kernelILi128ELi8ELi1EPKdS1_PdEvbiT2_T3_lllS4_lllT4_llli.num_named_barrier, 0
	.set _ZL19rocblas_syr2_kernelILi128ELi8ELi1EPKdS1_PdEvbiT2_T3_lllS4_lllT4_llli.private_seg_size, 0
	.set _ZL19rocblas_syr2_kernelILi128ELi8ELi1EPKdS1_PdEvbiT2_T3_lllS4_lllT4_llli.uses_vcc, 1
	.set _ZL19rocblas_syr2_kernelILi128ELi8ELi1EPKdS1_PdEvbiT2_T3_lllS4_lllT4_llli.uses_flat_scratch, 0
	.set _ZL19rocblas_syr2_kernelILi128ELi8ELi1EPKdS1_PdEvbiT2_T3_lllS4_lllT4_llli.has_dyn_sized_stack, 0
	.set _ZL19rocblas_syr2_kernelILi128ELi8ELi1EPKdS1_PdEvbiT2_T3_lllS4_lllT4_llli.has_recursion, 0
	.set _ZL19rocblas_syr2_kernelILi128ELi8ELi1EPKdS1_PdEvbiT2_T3_lllS4_lllT4_llli.has_indirect_call, 0
	.section	.AMDGPU.csdata,"",@progbits
; Kernel info:
; codeLenInByte = 784
; TotalNumSgprs: 30
; NumVgprs: 15
; ScratchSize: 0
; MemoryBound: 0
; FloatMode: 240
; IeeeMode: 1
; LDSByteSize: 0 bytes/workgroup (compile time only)
; SGPRBlocks: 0
; VGPRBlocks: 1
; NumSGPRsForWavesPerEU: 30
; NumVGPRsForWavesPerEU: 15
; Occupancy: 16
; WaveLimiterHint : 0
; COMPUTE_PGM_RSRC2:SCRATCH_EN: 0
; COMPUTE_PGM_RSRC2:USER_SGPR: 6
; COMPUTE_PGM_RSRC2:TRAP_HANDLER: 0
; COMPUTE_PGM_RSRC2:TGID_X_EN: 1
; COMPUTE_PGM_RSRC2:TGID_Y_EN: 1
; COMPUTE_PGM_RSRC2:TGID_Z_EN: 1
; COMPUTE_PGM_RSRC2:TIDIG_COMP_CNT: 1
	.section	.text._ZL19rocblas_syr2_kernelILi128ELi8ELi1EdPKdPdEvbiT2_T3_lllS4_lllT4_llli,"axG",@progbits,_ZL19rocblas_syr2_kernelILi128ELi8ELi1EdPKdPdEvbiT2_T3_lllS4_lllT4_llli,comdat
	.globl	_ZL19rocblas_syr2_kernelILi128ELi8ELi1EdPKdPdEvbiT2_T3_lllS4_lllT4_llli ; -- Begin function _ZL19rocblas_syr2_kernelILi128ELi8ELi1EdPKdPdEvbiT2_T3_lllS4_lllT4_llli
	.p2align	8
	.type	_ZL19rocblas_syr2_kernelILi128ELi8ELi1EdPKdPdEvbiT2_T3_lllS4_lllT4_llli,@function
_ZL19rocblas_syr2_kernelILi128ELi8ELi1EdPKdPdEvbiT2_T3_lllS4_lllT4_llli: ; @_ZL19rocblas_syr2_kernelILi128ELi8ELi1EdPKdPdEvbiT2_T3_lllS4_lllT4_llli
; %bb.0:
	s_clause 0x1
	s_load_dwordx16 s[12:27], s[4:5], 0x8
	s_load_dwordx2 s[0:1], s[4:5], 0x84
	s_waitcnt lgkmcnt(0)
	v_cmp_eq_f64_e64 s2, s[12:13], 0
	s_lshr_b32 s3, s0, 16
	s_and_b32 s0, s0, 0xffff
	s_and_b32 s1, s1, 0xffff
	s_mul_i32 s0, s3, s0
	s_mul_i32 s0, s0, s1
	s_cmpk_lg_i32 s0, 0x400
	s_cselect_b32 s0, -1, 0
	s_or_b32 s0, s2, s0
	s_and_b32 vcc_lo, exec_lo, s0
	s_cbranch_vccnz .LBB3_5
; %bb.1:
	s_load_dwordx2 s[0:1], s[4:5], 0x0
	v_lshl_add_u32 v0, s6, 7, v0
	v_lshl_add_u32 v2, s7, 3, v1
	s_mov_b32 s2, 0
	s_waitcnt lgkmcnt(0)
	s_bitcmp0_b32 s0, 0
	s_mov_b32 s0, -1
	s_cbranch_scc1 .LBB3_6
; %bb.2:
	s_andn2_b32 vcc_lo, exec_lo, s0
	s_cbranch_vccz .LBB3_7
.LBB3_3:
	s_and_saveexec_b32 s0, s2
	s_cbranch_execz .LBB3_5
.LBB3_4:
	s_clause 0x1
	s_load_dwordx2 s[10:11], s[4:5], 0x68
	s_load_dwordx8 s[0:7], s[4:5], 0x48
	v_mul_lo_u32 v9, s19, v2
	v_mul_lo_u32 v10, s19, v0
	v_ashrrev_i32_e32 v1, 31, v0
	s_mul_i32 s9, s21, s8
	s_mul_hi_u32 s21, s20, s8
	v_mul_lo_u32 v7, s27, v0
	v_mad_u64_u32 v[5:6], null, s26, v0, 0
	v_mul_lo_u32 v8, s26, v1
	s_mul_i32 s20, s20, s8
	v_ashrrev_i32_e32 v11, 31, v2
	v_mad_u64_u32 v[3:4], null, s18, v2, 0
	v_mul_lo_u32 v13, s18, v1
	v_mul_lo_u32 v12, s18, v11
	v_add3_u32 v6, v6, v8, v7
	v_mad_u64_u32 v[7:8], null, s18, v0, 0
	s_waitcnt lgkmcnt(0)
	s_mul_i32 s11, s11, s8
	s_mul_hi_u32 s19, s10, s8
	s_mul_i32 s10, s10, s8
	s_add_i32 s11, s19, s11
	s_mul_i32 s1, s1, s8
	s_lshl_b64 s[10:11], s[10:11], 3
	v_lshlrev_b64 v[5:6], 3, v[5:6]
	s_add_u32 s10, s2, s10
	s_addc_u32 s11, s3, s11
	s_lshl_b64 s[2:3], s[6:7], 3
	v_add3_u32 v4, v4, v12, v9
	s_add_u32 s6, s10, s2
	s_addc_u32 s7, s11, s3
	s_add_i32 s21, s21, s9
	s_mul_hi_u32 s9, s0, s8
	s_lshl_b64 s[2:3], s[20:21], 3
	s_mul_i32 s0, s0, s8
	s_add_u32 s10, s14, s2
	s_addc_u32 s11, s15, s3
	s_lshl_b64 s[2:3], s[16:17], 3
	v_add3_u32 v8, v8, v13, v10
	s_add_u32 s2, s10, s2
	s_addc_u32 s3, s11, s3
	s_add_i32 s1, s9, s1
	v_lshlrev_b64 v[3:4], 3, v[3:4]
	s_lshl_b64 s[0:1], s[0:1], 3
	v_lshlrev_b64 v[7:8], 3, v[7:8]
	s_add_u32 s8, s22, s0
	s_addc_u32 s9, s23, s1
	s_lshl_b64 s[0:1], s[24:25], 3
	v_mul_lo_u32 v12, s27, v2
	s_add_u32 s0, s8, s0
	s_addc_u32 s1, s9, s1
	v_add_co_u32 v5, vcc_lo, s0, v5
	v_add_co_ci_u32_e64 v6, null, s1, v6, vcc_lo
	v_add_co_u32 v3, vcc_lo, s2, v3
	v_add_co_ci_u32_e64 v4, null, s3, v4, vcc_lo
	global_load_dwordx2 v[5:6], v[5:6], off
	v_add_co_u32 v7, vcc_lo, s2, v7
	v_add_co_ci_u32_e64 v8, null, s3, v8, vcc_lo
	v_mul_lo_u32 v13, s26, v11
	v_mad_u64_u32 v[9:10], null, s26, v2, 0
	s_clause 0x1
	global_load_dwordx2 v[7:8], v[7:8], off
	global_load_dwordx2 v[3:4], v[3:4], off
	v_mul_lo_u32 v14, s4, v11
	v_lshlrev_b64 v[0:1], 3, v[0:1]
	v_add3_u32 v10, v10, v13, v12
	v_mul_lo_u32 v13, s5, v2
	v_mad_u64_u32 v[11:12], null, s4, v2, 0
	v_lshlrev_b64 v[9:10], 3, v[9:10]
	v_add3_u32 v12, v12, v14, v13
	v_add_co_u32 v9, vcc_lo, s0, v9
	v_add_co_ci_u32_e64 v10, null, s1, v10, vcc_lo
	v_lshlrev_b64 v[11:12], 3, v[11:12]
	global_load_dwordx2 v[9:10], v[9:10], off
	v_add_co_u32 v2, vcc_lo, s6, v11
	v_add_co_ci_u32_e64 v11, null, s7, v12, vcc_lo
	v_add_co_u32 v0, vcc_lo, v2, v0
	v_add_co_ci_u32_e64 v1, null, v11, v1, vcc_lo
	global_load_dwordx2 v[11:12], v[0:1], off
	s_waitcnt vmcnt(4)
	v_mul_f64 v[5:6], s[12:13], v[5:6]
	s_waitcnt vmcnt(3)
	v_mul_f64 v[7:8], s[12:13], v[7:8]
	;; [unrolled: 2-line block ×3, first 2 shown]
	s_waitcnt vmcnt(1)
	v_fma_f64 v[2:3], v[7:8], v[9:10], v[2:3]
	s_waitcnt vmcnt(0)
	v_add_f64 v[2:3], v[11:12], v[2:3]
	global_store_dwordx2 v[0:1], v[2:3], off
.LBB3_5:
	s_endpgm
.LBB3_6:
	v_cmp_gt_i32_e32 vcc_lo, s1, v0
	v_cmp_le_i32_e64 s0, v2, v0
	s_and_b32 s2, s0, vcc_lo
	s_and_b32 s2, s2, exec_lo
	s_cbranch_execnz .LBB3_3
.LBB3_7:
	v_cmp_gt_i32_e32 vcc_lo, s1, v2
	v_cmp_le_i32_e64 s0, v0, v2
	s_andn2_b32 s1, s2, exec_lo
	s_and_b32 s0, s0, vcc_lo
	s_and_b32 s0, s0, exec_lo
	s_or_b32 s2, s1, s0
	s_and_saveexec_b32 s0, s2
	s_cbranch_execnz .LBB3_4
	s_branch .LBB3_5
	.section	.rodata,"a",@progbits
	.p2align	6, 0x0
	.amdhsa_kernel _ZL19rocblas_syr2_kernelILi128ELi8ELi1EdPKdPdEvbiT2_T3_lllS4_lllT4_llli
		.amdhsa_group_segment_fixed_size 0
		.amdhsa_private_segment_fixed_size 0
		.amdhsa_kernarg_size 376
		.amdhsa_user_sgpr_count 6
		.amdhsa_user_sgpr_private_segment_buffer 1
		.amdhsa_user_sgpr_dispatch_ptr 0
		.amdhsa_user_sgpr_queue_ptr 0
		.amdhsa_user_sgpr_kernarg_segment_ptr 1
		.amdhsa_user_sgpr_dispatch_id 0
		.amdhsa_user_sgpr_flat_scratch_init 0
		.amdhsa_user_sgpr_private_segment_size 0
		.amdhsa_wavefront_size32 1
		.amdhsa_uses_dynamic_stack 0
		.amdhsa_system_sgpr_private_segment_wavefront_offset 0
		.amdhsa_system_sgpr_workgroup_id_x 1
		.amdhsa_system_sgpr_workgroup_id_y 1
		.amdhsa_system_sgpr_workgroup_id_z 1
		.amdhsa_system_sgpr_workgroup_info 0
		.amdhsa_system_vgpr_workitem_id 1
		.amdhsa_next_free_vgpr 15
		.amdhsa_next_free_sgpr 28
		.amdhsa_reserve_vcc 1
		.amdhsa_reserve_flat_scratch 0
		.amdhsa_float_round_mode_32 0
		.amdhsa_float_round_mode_16_64 0
		.amdhsa_float_denorm_mode_32 3
		.amdhsa_float_denorm_mode_16_64 3
		.amdhsa_dx10_clamp 1
		.amdhsa_ieee_mode 1
		.amdhsa_fp16_overflow 0
		.amdhsa_workgroup_processor_mode 1
		.amdhsa_memory_ordered 1
		.amdhsa_forward_progress 1
		.amdhsa_shared_vgpr_count 0
		.amdhsa_exception_fp_ieee_invalid_op 0
		.amdhsa_exception_fp_denorm_src 0
		.amdhsa_exception_fp_ieee_div_zero 0
		.amdhsa_exception_fp_ieee_overflow 0
		.amdhsa_exception_fp_ieee_underflow 0
		.amdhsa_exception_fp_ieee_inexact 0
		.amdhsa_exception_int_div_zero 0
	.end_amdhsa_kernel
	.section	.text._ZL19rocblas_syr2_kernelILi128ELi8ELi1EdPKdPdEvbiT2_T3_lllS4_lllT4_llli,"axG",@progbits,_ZL19rocblas_syr2_kernelILi128ELi8ELi1EdPKdPdEvbiT2_T3_lllS4_lllT4_llli,comdat
.Lfunc_end3:
	.size	_ZL19rocblas_syr2_kernelILi128ELi8ELi1EdPKdPdEvbiT2_T3_lllS4_lllT4_llli, .Lfunc_end3-_ZL19rocblas_syr2_kernelILi128ELi8ELi1EdPKdPdEvbiT2_T3_lllS4_lllT4_llli
                                        ; -- End function
	.set _ZL19rocblas_syr2_kernelILi128ELi8ELi1EdPKdPdEvbiT2_T3_lllS4_lllT4_llli.num_vgpr, 15
	.set _ZL19rocblas_syr2_kernelILi128ELi8ELi1EdPKdPdEvbiT2_T3_lllS4_lllT4_llli.num_agpr, 0
	.set _ZL19rocblas_syr2_kernelILi128ELi8ELi1EdPKdPdEvbiT2_T3_lllS4_lllT4_llli.numbered_sgpr, 28
	.set _ZL19rocblas_syr2_kernelILi128ELi8ELi1EdPKdPdEvbiT2_T3_lllS4_lllT4_llli.num_named_barrier, 0
	.set _ZL19rocblas_syr2_kernelILi128ELi8ELi1EdPKdPdEvbiT2_T3_lllS4_lllT4_llli.private_seg_size, 0
	.set _ZL19rocblas_syr2_kernelILi128ELi8ELi1EdPKdPdEvbiT2_T3_lllS4_lllT4_llli.uses_vcc, 1
	.set _ZL19rocblas_syr2_kernelILi128ELi8ELi1EdPKdPdEvbiT2_T3_lllS4_lllT4_llli.uses_flat_scratch, 0
	.set _ZL19rocblas_syr2_kernelILi128ELi8ELi1EdPKdPdEvbiT2_T3_lllS4_lllT4_llli.has_dyn_sized_stack, 0
	.set _ZL19rocblas_syr2_kernelILi128ELi8ELi1EdPKdPdEvbiT2_T3_lllS4_lllT4_llli.has_recursion, 0
	.set _ZL19rocblas_syr2_kernelILi128ELi8ELi1EdPKdPdEvbiT2_T3_lllS4_lllT4_llli.has_indirect_call, 0
	.section	.AMDGPU.csdata,"",@progbits
; Kernel info:
; codeLenInByte = 776
; TotalNumSgprs: 30
; NumVgprs: 15
; ScratchSize: 0
; MemoryBound: 0
; FloatMode: 240
; IeeeMode: 1
; LDSByteSize: 0 bytes/workgroup (compile time only)
; SGPRBlocks: 0
; VGPRBlocks: 1
; NumSGPRsForWavesPerEU: 30
; NumVGPRsForWavesPerEU: 15
; Occupancy: 16
; WaveLimiterHint : 0
; COMPUTE_PGM_RSRC2:SCRATCH_EN: 0
; COMPUTE_PGM_RSRC2:USER_SGPR: 6
; COMPUTE_PGM_RSRC2:TRAP_HANDLER: 0
; COMPUTE_PGM_RSRC2:TGID_X_EN: 1
; COMPUTE_PGM_RSRC2:TGID_Y_EN: 1
; COMPUTE_PGM_RSRC2:TGID_Z_EN: 1
; COMPUTE_PGM_RSRC2:TIDIG_COMP_CNT: 1
	.section	.text._ZL19rocblas_syr2_kernelILi128ELi8ELi1EPK19rocblas_complex_numIfES3_PS1_EvbiT2_T3_lllS6_lllT4_llli,"axG",@progbits,_ZL19rocblas_syr2_kernelILi128ELi8ELi1EPK19rocblas_complex_numIfES3_PS1_EvbiT2_T3_lllS6_lllT4_llli,comdat
	.globl	_ZL19rocblas_syr2_kernelILi128ELi8ELi1EPK19rocblas_complex_numIfES3_PS1_EvbiT2_T3_lllS6_lllT4_llli ; -- Begin function _ZL19rocblas_syr2_kernelILi128ELi8ELi1EPK19rocblas_complex_numIfES3_PS1_EvbiT2_T3_lllS6_lllT4_llli
	.p2align	8
	.type	_ZL19rocblas_syr2_kernelILi128ELi8ELi1EPK19rocblas_complex_numIfES3_PS1_EvbiT2_T3_lllS6_lllT4_llli,@function
_ZL19rocblas_syr2_kernelILi128ELi8ELi1EPK19rocblas_complex_numIfES3_PS1_EvbiT2_T3_lllS6_lllT4_llli: ; @_ZL19rocblas_syr2_kernelILi128ELi8ELi1EPK19rocblas_complex_numIfES3_PS1_EvbiT2_T3_lllS6_lllT4_llli
; %bb.0:
	s_load_dwordx2 s[0:1], s[4:5], 0x84
	s_waitcnt lgkmcnt(0)
	s_lshr_b32 s2, s0, 16
	s_and_b32 s0, s0, 0xffff
	s_and_b32 s1, s1, 0xffff
	s_mul_i32 s0, s2, s0
	s_mul_i32 s0, s0, s1
	s_cmpk_lg_i32 s0, 0x400
	s_cbranch_scc1 .LBB4_6
; %bb.1:
	s_load_dwordx16 s[12:27], s[4:5], 0x8
	s_mov_b32 s2, 0
	s_waitcnt lgkmcnt(0)
	s_load_dwordx2 s[10:11], s[12:13], 0x0
	s_waitcnt lgkmcnt(0)
	v_cmp_neq_f32_e64 s0, s10, 0
	v_cmp_neq_f32_e64 s1, s11, 0
	s_or_b32 s0, s0, s1
	s_andn2_b32 vcc_lo, exec_lo, s0
	s_cbranch_vccnz .LBB4_6
; %bb.2:
	s_load_dwordx2 s[0:1], s[4:5], 0x0
	v_lshl_add_u32 v0, s6, 7, v0
	v_lshl_add_u32 v2, s7, 3, v1
	s_waitcnt lgkmcnt(0)
	s_bitcmp0_b32 s0, 0
	s_mov_b32 s0, -1
	s_cbranch_scc1 .LBB4_7
; %bb.3:
	s_andn2_b32 vcc_lo, exec_lo, s0
	s_cbranch_vccz .LBB4_8
.LBB4_4:
	s_and_saveexec_b32 s0, s2
	s_cbranch_execz .LBB4_6
.LBB4_5:
	s_clause 0x1
	s_load_dwordx2 s[12:13], s[4:5], 0x68
	s_load_dwordx8 s[0:7], s[4:5], 0x48
	v_ashrrev_i32_e32 v11, 31, v2
	v_ashrrev_i32_e32 v1, 31, v0
	v_mul_lo_u32 v9, s27, v2
	v_mad_u64_u32 v[3:4], null, s26, v2, 0
	v_mul_lo_u32 v12, s19, v2
	v_mul_lo_u32 v10, s19, v0
	v_mad_u64_u32 v[5:6], null, s18, v0, 0
	v_mul_lo_u32 v13, s26, v11
	v_mul_lo_u32 v14, s18, v1
	s_mul_i32 s9, s21, s8
	s_mul_hi_u32 s21, s20, s8
	s_mul_i32 s20, s20, s8
	v_mad_u64_u32 v[7:8], null, s18, v2, 0
	v_mul_lo_u32 v15, s18, v11
	v_add3_u32 v4, v4, v13, v9
	s_waitcnt lgkmcnt(0)
	s_mul_i32 s13, s13, s8
	s_mul_hi_u32 s19, s12, s8
	s_mul_i32 s12, s12, s8
	s_add_i32 s13, s19, s13
	v_add3_u32 v6, v6, v14, v10
	s_lshl_b64 s[12:13], s[12:13], 3
	v_mul_lo_u32 v13, s27, v0
	s_add_u32 s12, s2, s12
	s_addc_u32 s13, s3, s13
	s_lshl_b64 s[2:3], s[6:7], 3
	v_mul_lo_u32 v14, s26, v1
	v_mad_u64_u32 v[9:10], null, s26, v0, 0
	s_add_u32 s6, s12, s2
	s_addc_u32 s7, s13, s3
	s_add_i32 s21, s21, s9
	s_mul_i32 s1, s1, s8
	s_lshl_b64 s[2:3], s[20:21], 3
	s_mul_hi_u32 s9, s0, s8
	s_add_u32 s12, s14, s2
	s_addc_u32 s13, s15, s3
	s_lshl_b64 s[2:3], s[16:17], 3
	v_add3_u32 v10, v10, v14, v13
	s_add_u32 s2, s12, s2
	s_mul_i32 s0, s0, s8
	s_addc_u32 s3, s13, s3
	s_add_i32 s1, s9, s1
	v_lshlrev_b64 v[5:6], 3, v[5:6]
	s_lshl_b64 s[0:1], s[0:1], 3
	v_lshlrev_b64 v[9:10], 3, v[9:10]
	s_add_u32 s8, s22, s0
	s_addc_u32 s9, s23, s1
	s_lshl_b64 s[0:1], s[24:25], 3
	v_add_co_u32 v5, vcc_lo, s2, v5
	s_add_u32 s0, s8, s0
	v_add3_u32 v8, v8, v15, v12
	s_addc_u32 s1, s9, s1
	v_add_co_ci_u32_e64 v6, null, s3, v6, vcc_lo
	v_add_co_u32 v9, vcc_lo, s0, v9
	v_mul_lo_u32 v15, s5, v2
	v_mul_lo_u32 v13, s4, v11
	v_mad_u64_u32 v[11:12], null, s4, v2, 0
	v_add_co_ci_u32_e64 v10, null, s1, v10, vcc_lo
	v_lshlrev_b64 v[3:4], 3, v[3:4]
	v_lshlrev_b64 v[7:8], 3, v[7:8]
	global_load_dwordx2 v[5:6], v[5:6], off
	global_load_dwordx2 v[9:10], v[9:10], off
	v_add3_u32 v12, v12, v13, v15
	v_lshlrev_b64 v[0:1], 3, v[0:1]
	v_add_co_u32 v2, vcc_lo, s0, v3
	v_add_co_ci_u32_e64 v3, null, s1, v4, vcc_lo
	v_add_co_u32 v7, vcc_lo, s2, v7
	v_add_co_ci_u32_e64 v8, null, s3, v8, vcc_lo
	v_lshlrev_b64 v[11:12], 3, v[11:12]
	global_load_dwordx2 v[2:3], v[2:3], off
	global_load_dwordx2 v[7:8], v[7:8], off
	v_add_co_u32 v4, vcc_lo, s6, v11
	v_add_co_ci_u32_e64 v11, null, s7, v12, vcc_lo
	v_add_co_u32 v0, vcc_lo, v4, v0
	v_add_co_ci_u32_e64 v1, null, v11, v1, vcc_lo
	global_load_dwordx2 v[11:12], v[0:1], off
	s_waitcnt vmcnt(4)
	v_mul_f32_e32 v4, s10, v6
	s_waitcnt vmcnt(3)
	v_mul_f32_e32 v13, s10, v10
	v_mul_f32_e32 v6, s11, v6
	;; [unrolled: 1-line block ×3, first 2 shown]
	v_fmac_f32_e32 v4, s11, v5
	v_fmac_f32_e32 v13, s11, v9
	v_fma_f32 v5, s10, v5, -v6
	v_fma_f32 v9, s10, v9, -v10
	s_waitcnt vmcnt(2)
	v_mul_f32_e32 v6, v3, v4
	v_mul_f32_e32 v4, v2, v4
	s_waitcnt vmcnt(1)
	v_mul_f32_e32 v10, v8, v13
	v_mul_f32_e32 v13, v7, v13
	v_fma_f32 v2, v2, v5, -v6
	v_fmac_f32_e32 v4, v3, v5
	v_fma_f32 v3, v7, v9, -v10
	v_fmac_f32_e32 v13, v8, v9
	v_add_f32_e32 v2, v2, v3
	v_add_f32_e32 v3, v4, v13
	s_waitcnt vmcnt(0)
	v_add_f32_e32 v2, v11, v2
	v_add_f32_e32 v3, v12, v3
	global_store_dwordx2 v[0:1], v[2:3], off
.LBB4_6:
	s_endpgm
.LBB4_7:
	v_cmp_gt_i32_e32 vcc_lo, s1, v0
	v_cmp_le_i32_e64 s0, v2, v0
	s_and_b32 s2, s0, vcc_lo
	s_and_b32 s2, s2, exec_lo
	s_cbranch_execnz .LBB4_4
.LBB4_8:
	v_cmp_gt_i32_e32 vcc_lo, s1, v2
	v_cmp_le_i32_e64 s0, v0, v2
	s_andn2_b32 s1, s2, exec_lo
	s_and_b32 s0, s0, vcc_lo
	s_and_b32 s0, s0, exec_lo
	s_or_b32 s2, s1, s0
	s_and_saveexec_b32 s0, s2
	s_cbranch_execnz .LBB4_5
	s_branch .LBB4_6
	.section	.rodata,"a",@progbits
	.p2align	6, 0x0
	.amdhsa_kernel _ZL19rocblas_syr2_kernelILi128ELi8ELi1EPK19rocblas_complex_numIfES3_PS1_EvbiT2_T3_lllS6_lllT4_llli
		.amdhsa_group_segment_fixed_size 0
		.amdhsa_private_segment_fixed_size 0
		.amdhsa_kernarg_size 376
		.amdhsa_user_sgpr_count 6
		.amdhsa_user_sgpr_private_segment_buffer 1
		.amdhsa_user_sgpr_dispatch_ptr 0
		.amdhsa_user_sgpr_queue_ptr 0
		.amdhsa_user_sgpr_kernarg_segment_ptr 1
		.amdhsa_user_sgpr_dispatch_id 0
		.amdhsa_user_sgpr_flat_scratch_init 0
		.amdhsa_user_sgpr_private_segment_size 0
		.amdhsa_wavefront_size32 1
		.amdhsa_uses_dynamic_stack 0
		.amdhsa_system_sgpr_private_segment_wavefront_offset 0
		.amdhsa_system_sgpr_workgroup_id_x 1
		.amdhsa_system_sgpr_workgroup_id_y 1
		.amdhsa_system_sgpr_workgroup_id_z 1
		.amdhsa_system_sgpr_workgroup_info 0
		.amdhsa_system_vgpr_workitem_id 1
		.amdhsa_next_free_vgpr 16
		.amdhsa_next_free_sgpr 28
		.amdhsa_reserve_vcc 1
		.amdhsa_reserve_flat_scratch 0
		.amdhsa_float_round_mode_32 0
		.amdhsa_float_round_mode_16_64 0
		.amdhsa_float_denorm_mode_32 3
		.amdhsa_float_denorm_mode_16_64 3
		.amdhsa_dx10_clamp 1
		.amdhsa_ieee_mode 1
		.amdhsa_fp16_overflow 0
		.amdhsa_workgroup_processor_mode 1
		.amdhsa_memory_ordered 1
		.amdhsa_forward_progress 1
		.amdhsa_shared_vgpr_count 0
		.amdhsa_exception_fp_ieee_invalid_op 0
		.amdhsa_exception_fp_denorm_src 0
		.amdhsa_exception_fp_ieee_div_zero 0
		.amdhsa_exception_fp_ieee_overflow 0
		.amdhsa_exception_fp_ieee_underflow 0
		.amdhsa_exception_fp_ieee_inexact 0
		.amdhsa_exception_int_div_zero 0
	.end_amdhsa_kernel
	.section	.text._ZL19rocblas_syr2_kernelILi128ELi8ELi1EPK19rocblas_complex_numIfES3_PS1_EvbiT2_T3_lllS6_lllT4_llli,"axG",@progbits,_ZL19rocblas_syr2_kernelILi128ELi8ELi1EPK19rocblas_complex_numIfES3_PS1_EvbiT2_T3_lllS6_lllT4_llli,comdat
.Lfunc_end4:
	.size	_ZL19rocblas_syr2_kernelILi128ELi8ELi1EPK19rocblas_complex_numIfES3_PS1_EvbiT2_T3_lllS6_lllT4_llli, .Lfunc_end4-_ZL19rocblas_syr2_kernelILi128ELi8ELi1EPK19rocblas_complex_numIfES3_PS1_EvbiT2_T3_lllS6_lllT4_llli
                                        ; -- End function
	.set _ZL19rocblas_syr2_kernelILi128ELi8ELi1EPK19rocblas_complex_numIfES3_PS1_EvbiT2_T3_lllS6_lllT4_llli.num_vgpr, 16
	.set _ZL19rocblas_syr2_kernelILi128ELi8ELi1EPK19rocblas_complex_numIfES3_PS1_EvbiT2_T3_lllS6_lllT4_llli.num_agpr, 0
	.set _ZL19rocblas_syr2_kernelILi128ELi8ELi1EPK19rocblas_complex_numIfES3_PS1_EvbiT2_T3_lllS6_lllT4_llli.numbered_sgpr, 28
	.set _ZL19rocblas_syr2_kernelILi128ELi8ELi1EPK19rocblas_complex_numIfES3_PS1_EvbiT2_T3_lllS6_lllT4_llli.num_named_barrier, 0
	.set _ZL19rocblas_syr2_kernelILi128ELi8ELi1EPK19rocblas_complex_numIfES3_PS1_EvbiT2_T3_lllS6_lllT4_llli.private_seg_size, 0
	.set _ZL19rocblas_syr2_kernelILi128ELi8ELi1EPK19rocblas_complex_numIfES3_PS1_EvbiT2_T3_lllS6_lllT4_llli.uses_vcc, 1
	.set _ZL19rocblas_syr2_kernelILi128ELi8ELi1EPK19rocblas_complex_numIfES3_PS1_EvbiT2_T3_lllS6_lllT4_llli.uses_flat_scratch, 0
	.set _ZL19rocblas_syr2_kernelILi128ELi8ELi1EPK19rocblas_complex_numIfES3_PS1_EvbiT2_T3_lllS6_lllT4_llli.has_dyn_sized_stack, 0
	.set _ZL19rocblas_syr2_kernelILi128ELi8ELi1EPK19rocblas_complex_numIfES3_PS1_EvbiT2_T3_lllS6_lllT4_llli.has_recursion, 0
	.set _ZL19rocblas_syr2_kernelILi128ELi8ELi1EPK19rocblas_complex_numIfES3_PS1_EvbiT2_T3_lllS6_lllT4_llli.has_indirect_call, 0
	.section	.AMDGPU.csdata,"",@progbits
; Kernel info:
; codeLenInByte = 848
; TotalNumSgprs: 30
; NumVgprs: 16
; ScratchSize: 0
; MemoryBound: 0
; FloatMode: 240
; IeeeMode: 1
; LDSByteSize: 0 bytes/workgroup (compile time only)
; SGPRBlocks: 0
; VGPRBlocks: 1
; NumSGPRsForWavesPerEU: 30
; NumVGPRsForWavesPerEU: 16
; Occupancy: 16
; WaveLimiterHint : 0
; COMPUTE_PGM_RSRC2:SCRATCH_EN: 0
; COMPUTE_PGM_RSRC2:USER_SGPR: 6
; COMPUTE_PGM_RSRC2:TRAP_HANDLER: 0
; COMPUTE_PGM_RSRC2:TGID_X_EN: 1
; COMPUTE_PGM_RSRC2:TGID_Y_EN: 1
; COMPUTE_PGM_RSRC2:TGID_Z_EN: 1
; COMPUTE_PGM_RSRC2:TIDIG_COMP_CNT: 1
	.section	.text._ZL19rocblas_syr2_kernelILi128ELi8ELi1E19rocblas_complex_numIfEPKS1_PS1_EvbiT2_T3_lllS6_lllT4_llli,"axG",@progbits,_ZL19rocblas_syr2_kernelILi128ELi8ELi1E19rocblas_complex_numIfEPKS1_PS1_EvbiT2_T3_lllS6_lllT4_llli,comdat
	.globl	_ZL19rocblas_syr2_kernelILi128ELi8ELi1E19rocblas_complex_numIfEPKS1_PS1_EvbiT2_T3_lllS6_lllT4_llli ; -- Begin function _ZL19rocblas_syr2_kernelILi128ELi8ELi1E19rocblas_complex_numIfEPKS1_PS1_EvbiT2_T3_lllS6_lllT4_llli
	.p2align	8
	.type	_ZL19rocblas_syr2_kernelILi128ELi8ELi1E19rocblas_complex_numIfEPKS1_PS1_EvbiT2_T3_lllS6_lllT4_llli,@function
_ZL19rocblas_syr2_kernelILi128ELi8ELi1E19rocblas_complex_numIfEPKS1_PS1_EvbiT2_T3_lllS6_lllT4_llli: ; @_ZL19rocblas_syr2_kernelILi128ELi8ELi1E19rocblas_complex_numIfEPKS1_PS1_EvbiT2_T3_lllS6_lllT4_llli
; %bb.0:
	s_load_dwordx2 s[0:1], s[4:5], 0x84
	s_waitcnt lgkmcnt(0)
	s_lshr_b32 s2, s0, 16
	s_and_b32 s0, s0, 0xffff
	s_and_b32 s1, s1, 0xffff
	s_mul_i32 s0, s2, s0
	s_mul_i32 s0, s0, s1
	s_cmpk_lg_i32 s0, 0x400
	s_cbranch_scc1 .LBB5_6
; %bb.1:
	s_load_dwordx2 s[2:3], s[4:5], 0x8
	s_mov_b32 s9, 0
	s_waitcnt lgkmcnt(0)
	v_cmp_neq_f32_e64 s0, s2, 0
	v_cmp_neq_f32_e64 s1, s3, 0
	s_or_b32 s0, s0, s1
	s_andn2_b32 vcc_lo, exec_lo, s0
	s_cbranch_vccnz .LBB5_6
; %bb.2:
	s_load_dwordx2 s[0:1], s[4:5], 0x0
	v_lshl_add_u32 v0, s6, 7, v0
	v_lshl_add_u32 v2, s7, 3, v1
	s_waitcnt lgkmcnt(0)
	s_bitcmp0_b32 s0, 0
	s_mov_b32 s0, -1
	s_cbranch_scc1 .LBB5_7
; %bb.3:
	s_andn2_b32 vcc_lo, exec_lo, s0
	s_cbranch_vccz .LBB5_8
.LBB5_4:
	s_and_saveexec_b32 s0, s9
	s_cbranch_execz .LBB5_6
.LBB5_5:
	s_clause 0x1
	s_load_dwordx8 s[36:43], s[4:5], 0x50
	s_load_dwordx16 s[12:27], s[4:5], 0x10
	v_ashrrev_i32_e32 v11, 31, v2
	v_ashrrev_i32_e32 v1, 31, v0
	s_waitcnt lgkmcnt(0)
	s_mul_i32 s1, s43, s8
	s_mul_hi_u32 s5, s42, s8
	v_mul_lo_u32 v9, s25, v2
	v_mul_lo_u32 v10, s24, v11
	v_mad_u64_u32 v[3:4], null, s24, v2, 0
	v_mul_lo_u32 v14, s17, v0
	v_mul_lo_u32 v15, s16, v1
	v_mad_u64_u32 v[5:6], null, s16, v0, 0
	s_mul_i32 s0, s42, s8
	s_add_i32 s1, s5, s1
	s_mul_i32 s7, s19, s8
	s_lshl_b64 s[0:1], s[0:1], 3
	s_mul_hi_u32 s9, s18, s8
	s_add_u32 s5, s36, s0
	s_mul_i32 s4, s18, s8
	s_mul_i32 s10, s27, s8
	s_mul_hi_u32 s11, s26, s8
	s_mul_i32 s6, s26, s8
	s_addc_u32 s8, s37, s1
	s_lshl_b64 s[0:1], s[40:41], 3
	v_add3_u32 v4, v4, v10, v9
	v_add3_u32 v6, v6, v15, v14
	v_mul_lo_u32 v14, s25, v0
	v_mul_lo_u32 v15, s24, v1
	v_mad_u64_u32 v[9:10], null, s24, v0, 0
	s_add_u32 s18, s5, s0
	s_addc_u32 s8, s8, s1
	s_add_i32 s5, s9, s7
	v_mul_lo_u32 v12, s17, v2
	s_lshl_b64 s[0:1], s[4:5], 3
	v_mul_lo_u32 v13, s16, v11
	s_add_u32 s4, s12, s0
	s_addc_u32 s5, s13, s1
	s_lshl_b64 s[0:1], s[14:15], 3
	v_add3_u32 v10, v10, v15, v14
	s_add_u32 s4, s4, s0
	s_addc_u32 s5, s5, s1
	s_add_i32 s7, s11, s10
	v_mad_u64_u32 v[7:8], null, s16, v2, 0
	v_lshlrev_b64 v[5:6], 3, v[5:6]
	s_lshl_b64 s[0:1], s[6:7], 3
	v_lshlrev_b64 v[9:10], 3, v[9:10]
	s_add_u32 s6, s20, s0
	s_addc_u32 s7, s21, s1
	s_lshl_b64 s[0:1], s[22:23], 3
	v_add_co_u32 v5, vcc_lo, s4, v5
	s_add_u32 s0, s6, s0
	v_add3_u32 v8, v8, v13, v12
	s_addc_u32 s1, s7, s1
	v_add_co_ci_u32_e64 v6, null, s5, v6, vcc_lo
	v_add_co_u32 v9, vcc_lo, s0, v9
	v_mul_lo_u32 v13, s39, v2
	v_mul_lo_u32 v14, s38, v11
	v_mad_u64_u32 v[11:12], null, s38, v2, 0
	v_add_co_ci_u32_e64 v10, null, s1, v10, vcc_lo
	v_lshlrev_b64 v[3:4], 3, v[3:4]
	v_lshlrev_b64 v[7:8], 3, v[7:8]
	global_load_dwordx2 v[5:6], v[5:6], off
	global_load_dwordx2 v[9:10], v[9:10], off
	v_add3_u32 v12, v12, v14, v13
	v_lshlrev_b64 v[0:1], 3, v[0:1]
	v_add_co_u32 v2, vcc_lo, s0, v3
	v_add_co_ci_u32_e64 v3, null, s1, v4, vcc_lo
	v_add_co_u32 v7, vcc_lo, s4, v7
	v_add_co_ci_u32_e64 v8, null, s5, v8, vcc_lo
	v_lshlrev_b64 v[11:12], 3, v[11:12]
	global_load_dwordx2 v[2:3], v[2:3], off
	global_load_dwordx2 v[7:8], v[7:8], off
	v_add_co_u32 v4, vcc_lo, s18, v11
	v_add_co_ci_u32_e64 v11, null, s8, v12, vcc_lo
	v_add_co_u32 v0, vcc_lo, v4, v0
	v_add_co_ci_u32_e64 v1, null, v11, v1, vcc_lo
	global_load_dwordx2 v[11:12], v[0:1], off
	s_waitcnt vmcnt(4)
	v_mul_f32_e32 v4, s2, v6
	s_waitcnt vmcnt(3)
	v_mul_f32_e32 v13, s2, v10
	v_mul_f32_e32 v6, s3, v6
	;; [unrolled: 1-line block ×3, first 2 shown]
	v_fmac_f32_e32 v4, s3, v5
	v_fmac_f32_e32 v13, s3, v9
	v_fma_f32 v5, s2, v5, -v6
	v_fma_f32 v9, s2, v9, -v10
	s_waitcnt vmcnt(2)
	v_mul_f32_e32 v6, v3, v4
	v_mul_f32_e32 v4, v2, v4
	s_waitcnt vmcnt(1)
	v_mul_f32_e32 v10, v8, v13
	v_mul_f32_e32 v13, v7, v13
	v_fma_f32 v2, v2, v5, -v6
	v_fmac_f32_e32 v4, v3, v5
	v_fma_f32 v3, v7, v9, -v10
	v_fmac_f32_e32 v13, v8, v9
	v_add_f32_e32 v2, v2, v3
	v_add_f32_e32 v3, v4, v13
	s_waitcnt vmcnt(0)
	v_add_f32_e32 v2, v11, v2
	v_add_f32_e32 v3, v12, v3
	global_store_dwordx2 v[0:1], v[2:3], off
.LBB5_6:
	s_endpgm
.LBB5_7:
	v_cmp_gt_i32_e32 vcc_lo, s1, v0
	v_cmp_le_i32_e64 s0, v2, v0
	s_and_b32 s6, s0, vcc_lo
	s_and_b32 s9, s6, exec_lo
	s_cbranch_execnz .LBB5_4
.LBB5_8:
	v_cmp_gt_i32_e32 vcc_lo, s1, v2
	v_cmp_le_i32_e64 s0, v0, v2
	s_andn2_b32 s1, s9, exec_lo
	s_and_b32 s0, s0, vcc_lo
	s_and_b32 s0, s0, exec_lo
	s_or_b32 s9, s1, s0
	s_and_saveexec_b32 s0, s9
	s_cbranch_execnz .LBB5_5
	s_branch .LBB5_6
	.section	.rodata,"a",@progbits
	.p2align	6, 0x0
	.amdhsa_kernel _ZL19rocblas_syr2_kernelILi128ELi8ELi1E19rocblas_complex_numIfEPKS1_PS1_EvbiT2_T3_lllS6_lllT4_llli
		.amdhsa_group_segment_fixed_size 0
		.amdhsa_private_segment_fixed_size 0
		.amdhsa_kernarg_size 376
		.amdhsa_user_sgpr_count 6
		.amdhsa_user_sgpr_private_segment_buffer 1
		.amdhsa_user_sgpr_dispatch_ptr 0
		.amdhsa_user_sgpr_queue_ptr 0
		.amdhsa_user_sgpr_kernarg_segment_ptr 1
		.amdhsa_user_sgpr_dispatch_id 0
		.amdhsa_user_sgpr_flat_scratch_init 0
		.amdhsa_user_sgpr_private_segment_size 0
		.amdhsa_wavefront_size32 1
		.amdhsa_uses_dynamic_stack 0
		.amdhsa_system_sgpr_private_segment_wavefront_offset 0
		.amdhsa_system_sgpr_workgroup_id_x 1
		.amdhsa_system_sgpr_workgroup_id_y 1
		.amdhsa_system_sgpr_workgroup_id_z 1
		.amdhsa_system_sgpr_workgroup_info 0
		.amdhsa_system_vgpr_workitem_id 1
		.amdhsa_next_free_vgpr 16
		.amdhsa_next_free_sgpr 44
		.amdhsa_reserve_vcc 1
		.amdhsa_reserve_flat_scratch 0
		.amdhsa_float_round_mode_32 0
		.amdhsa_float_round_mode_16_64 0
		.amdhsa_float_denorm_mode_32 3
		.amdhsa_float_denorm_mode_16_64 3
		.amdhsa_dx10_clamp 1
		.amdhsa_ieee_mode 1
		.amdhsa_fp16_overflow 0
		.amdhsa_workgroup_processor_mode 1
		.amdhsa_memory_ordered 1
		.amdhsa_forward_progress 1
		.amdhsa_shared_vgpr_count 0
		.amdhsa_exception_fp_ieee_invalid_op 0
		.amdhsa_exception_fp_denorm_src 0
		.amdhsa_exception_fp_ieee_div_zero 0
		.amdhsa_exception_fp_ieee_overflow 0
		.amdhsa_exception_fp_ieee_underflow 0
		.amdhsa_exception_fp_ieee_inexact 0
		.amdhsa_exception_int_div_zero 0
	.end_amdhsa_kernel
	.section	.text._ZL19rocblas_syr2_kernelILi128ELi8ELi1E19rocblas_complex_numIfEPKS1_PS1_EvbiT2_T3_lllS6_lllT4_llli,"axG",@progbits,_ZL19rocblas_syr2_kernelILi128ELi8ELi1E19rocblas_complex_numIfEPKS1_PS1_EvbiT2_T3_lllS6_lllT4_llli,comdat
.Lfunc_end5:
	.size	_ZL19rocblas_syr2_kernelILi128ELi8ELi1E19rocblas_complex_numIfEPKS1_PS1_EvbiT2_T3_lllS6_lllT4_llli, .Lfunc_end5-_ZL19rocblas_syr2_kernelILi128ELi8ELi1E19rocblas_complex_numIfEPKS1_PS1_EvbiT2_T3_lllS6_lllT4_llli
                                        ; -- End function
	.set _ZL19rocblas_syr2_kernelILi128ELi8ELi1E19rocblas_complex_numIfEPKS1_PS1_EvbiT2_T3_lllS6_lllT4_llli.num_vgpr, 16
	.set _ZL19rocblas_syr2_kernelILi128ELi8ELi1E19rocblas_complex_numIfEPKS1_PS1_EvbiT2_T3_lllS6_lllT4_llli.num_agpr, 0
	.set _ZL19rocblas_syr2_kernelILi128ELi8ELi1E19rocblas_complex_numIfEPKS1_PS1_EvbiT2_T3_lllS6_lllT4_llli.numbered_sgpr, 44
	.set _ZL19rocblas_syr2_kernelILi128ELi8ELi1E19rocblas_complex_numIfEPKS1_PS1_EvbiT2_T3_lllS6_lllT4_llli.num_named_barrier, 0
	.set _ZL19rocblas_syr2_kernelILi128ELi8ELi1E19rocblas_complex_numIfEPKS1_PS1_EvbiT2_T3_lllS6_lllT4_llli.private_seg_size, 0
	.set _ZL19rocblas_syr2_kernelILi128ELi8ELi1E19rocblas_complex_numIfEPKS1_PS1_EvbiT2_T3_lllS6_lllT4_llli.uses_vcc, 1
	.set _ZL19rocblas_syr2_kernelILi128ELi8ELi1E19rocblas_complex_numIfEPKS1_PS1_EvbiT2_T3_lllS6_lllT4_llli.uses_flat_scratch, 0
	.set _ZL19rocblas_syr2_kernelILi128ELi8ELi1E19rocblas_complex_numIfEPKS1_PS1_EvbiT2_T3_lllS6_lllT4_llli.has_dyn_sized_stack, 0
	.set _ZL19rocblas_syr2_kernelILi128ELi8ELi1E19rocblas_complex_numIfEPKS1_PS1_EvbiT2_T3_lllS6_lllT4_llli.has_recursion, 0
	.set _ZL19rocblas_syr2_kernelILi128ELi8ELi1E19rocblas_complex_numIfEPKS1_PS1_EvbiT2_T3_lllS6_lllT4_llli.has_indirect_call, 0
	.section	.AMDGPU.csdata,"",@progbits
; Kernel info:
; codeLenInByte = 836
; TotalNumSgprs: 46
; NumVgprs: 16
; ScratchSize: 0
; MemoryBound: 0
; FloatMode: 240
; IeeeMode: 1
; LDSByteSize: 0 bytes/workgroup (compile time only)
; SGPRBlocks: 0
; VGPRBlocks: 1
; NumSGPRsForWavesPerEU: 46
; NumVGPRsForWavesPerEU: 16
; Occupancy: 16
; WaveLimiterHint : 0
; COMPUTE_PGM_RSRC2:SCRATCH_EN: 0
; COMPUTE_PGM_RSRC2:USER_SGPR: 6
; COMPUTE_PGM_RSRC2:TRAP_HANDLER: 0
; COMPUTE_PGM_RSRC2:TGID_X_EN: 1
; COMPUTE_PGM_RSRC2:TGID_Y_EN: 1
; COMPUTE_PGM_RSRC2:TGID_Z_EN: 1
; COMPUTE_PGM_RSRC2:TIDIG_COMP_CNT: 1
	.section	.text._ZL19rocblas_syr2_kernelILi128ELi8ELi1EPK19rocblas_complex_numIdES3_PS1_EvbiT2_T3_lllS6_lllT4_llli,"axG",@progbits,_ZL19rocblas_syr2_kernelILi128ELi8ELi1EPK19rocblas_complex_numIdES3_PS1_EvbiT2_T3_lllS6_lllT4_llli,comdat
	.globl	_ZL19rocblas_syr2_kernelILi128ELi8ELi1EPK19rocblas_complex_numIdES3_PS1_EvbiT2_T3_lllS6_lllT4_llli ; -- Begin function _ZL19rocblas_syr2_kernelILi128ELi8ELi1EPK19rocblas_complex_numIdES3_PS1_EvbiT2_T3_lllS6_lllT4_llli
	.p2align	8
	.type	_ZL19rocblas_syr2_kernelILi128ELi8ELi1EPK19rocblas_complex_numIdES3_PS1_EvbiT2_T3_lllS6_lllT4_llli,@function
_ZL19rocblas_syr2_kernelILi128ELi8ELi1EPK19rocblas_complex_numIdES3_PS1_EvbiT2_T3_lllS6_lllT4_llli: ; @_ZL19rocblas_syr2_kernelILi128ELi8ELi1EPK19rocblas_complex_numIdES3_PS1_EvbiT2_T3_lllS6_lllT4_llli
; %bb.0:
	s_load_dwordx2 s[0:1], s[4:5], 0x84
	s_waitcnt lgkmcnt(0)
	s_lshr_b32 s2, s0, 16
	s_and_b32 s0, s0, 0xffff
	s_and_b32 s1, s1, 0xffff
	s_mul_i32 s0, s2, s0
	s_mul_i32 s0, s0, s1
	s_cmpk_lg_i32 s0, 0x400
	s_cbranch_scc1 .LBB6_6
; %bb.1:
	s_load_dwordx16 s[12:27], s[4:5], 0x8
	s_waitcnt lgkmcnt(0)
	s_load_dwordx4 s[28:31], s[12:13], 0x0
	s_waitcnt lgkmcnt(0)
	v_cmp_neq_f64_e64 s0, s[28:29], 0
	v_cmp_neq_f64_e64 s1, s[30:31], 0
	s_or_b32 s0, s0, s1
	s_andn2_b32 vcc_lo, exec_lo, s0
	s_cbranch_vccnz .LBB6_6
; %bb.2:
	s_load_dwordx2 s[0:1], s[4:5], 0x0
	v_lshl_add_u32 v0, s6, 7, v0
	v_lshl_add_u32 v2, s7, 3, v1
	s_mov_b32 s2, 0
	s_waitcnt lgkmcnt(0)
	s_bitcmp0_b32 s0, 0
	s_mov_b32 s0, -1
	s_cbranch_scc1 .LBB6_7
; %bb.3:
	s_andn2_b32 vcc_lo, exec_lo, s0
	s_cbranch_vccz .LBB6_8
.LBB6_4:
	s_and_saveexec_b32 s0, s2
	s_cbranch_execz .LBB6_6
.LBB6_5:
	s_clause 0x1
	s_load_dwordx2 s[10:11], s[4:5], 0x68
	s_load_dwordx8 s[0:7], s[4:5], 0x48
	s_mul_hi_u32 s13, s20, s8
	s_mul_i32 s12, s20, s8
	v_ashrrev_i32_e32 v1, 31, v0
	v_mul_lo_u32 v7, s19, v0
	v_mad_u64_u32 v[3:4], null, s18, v0, 0
	s_mul_i32 s9, s21, s8
	v_mul_lo_u32 v9, s18, v1
	v_mul_lo_u32 v8, s27, v0
	v_mad_u64_u32 v[5:6], null, s26, v0, 0
	v_mul_lo_u32 v10, s26, v1
	v_ashrrev_i32_e32 v19, 31, v2
	v_mul_lo_u32 v15, s27, v2
	v_mad_u64_u32 v[11:12], null, s26, v2, 0
	v_add3_u32 v4, v4, v9, v7
	v_mul_lo_u32 v16, s26, v19
	s_waitcnt lgkmcnt(0)
	s_mul_i32 s11, s11, s8
	s_mul_hi_u32 s20, s10, s8
	s_mul_i32 s10, s10, s8
	s_add_i32 s11, s20, s11
	s_mul_i32 s1, s1, s8
	s_lshl_b64 s[10:11], s[10:11], 4
	v_add3_u32 v6, v6, v10, v8
	s_add_u32 s10, s2, s10
	s_addc_u32 s11, s3, s11
	s_lshl_b64 s[2:3], s[6:7], 4
	v_lshlrev_b64 v[3:4], 4, v[3:4]
	s_add_u32 s6, s10, s2
	s_addc_u32 s7, s11, s3
	s_add_i32 s13, s13, s9
	s_mul_hi_u32 s9, s0, s8
	s_lshl_b64 s[2:3], s[12:13], 4
	s_mul_i32 s0, s0, s8
	s_add_u32 s10, s14, s2
	s_addc_u32 s11, s15, s3
	s_lshl_b64 s[2:3], s[16:17], 4
	v_lshlrev_b64 v[5:6], 4, v[5:6]
	s_add_u32 s2, s10, s2
	s_addc_u32 s3, s11, s3
	s_add_i32 s1, s9, s1
	v_add_co_u32 v3, vcc_lo, s2, v3
	s_lshl_b64 s[0:1], s[0:1], 4
	v_add_co_ci_u32_e64 v4, null, s3, v4, vcc_lo
	s_add_u32 s8, s22, s0
	s_addc_u32 s9, s23, s1
	s_lshl_b64 s[0:1], s[24:25], 4
	v_mul_lo_u32 v17, s19, v2
	s_add_u32 s0, s8, s0
	s_addc_u32 s1, s9, s1
	v_add_co_u32 v7, vcc_lo, s0, v5
	v_add_co_ci_u32_e64 v8, null, s1, v6, vcc_lo
	global_load_dwordx4 v[3:6], v[3:4], off
	global_load_dwordx4 v[7:10], v[7:8], off
	v_mad_u64_u32 v[13:14], null, s18, v2, 0
	v_mul_lo_u32 v18, s18, v19
	v_add3_u32 v12, v12, v16, v15
	v_mul_lo_u32 v21, s5, v2
	v_mul_lo_u32 v22, s4, v19
	v_mad_u64_u32 v[19:20], null, s4, v2, 0
	v_lshlrev_b64 v[11:12], 4, v[11:12]
	v_lshlrev_b64 v[0:1], 4, v[0:1]
	v_add3_u32 v14, v14, v18, v17
	v_add_co_u32 v11, vcc_lo, s0, v11
	v_lshlrev_b64 v[13:14], 4, v[13:14]
	v_add_co_ci_u32_e64 v12, null, s1, v12, vcc_lo
	v_add3_u32 v20, v20, v22, v21
	v_add_co_u32 v15, vcc_lo, s2, v13
	v_add_co_ci_u32_e64 v16, null, s3, v14, vcc_lo
	global_load_dwordx4 v[11:14], v[11:12], off
	global_load_dwordx4 v[15:18], v[15:16], off
	v_lshlrev_b64 v[19:20], 4, v[19:20]
	v_add_co_u32 v2, vcc_lo, s6, v19
	v_add_co_ci_u32_e64 v19, null, s7, v20, vcc_lo
	v_add_co_u32 v23, vcc_lo, v2, v0
	v_add_co_ci_u32_e64 v24, null, v19, v1, vcc_lo
	global_load_dwordx4 v[19:22], v[23:24], off
	s_waitcnt vmcnt(4)
	v_mul_f64 v[0:1], s[28:29], v[5:6]
	s_waitcnt vmcnt(3)
	v_mul_f64 v[25:26], s[28:29], v[9:10]
	v_mul_f64 v[5:6], s[30:31], v[5:6]
	;; [unrolled: 1-line block ×3, first 2 shown]
	v_fma_f64 v[0:1], s[30:31], v[3:4], v[0:1]
	v_fma_f64 v[25:26], s[30:31], v[7:8], v[25:26]
	v_fma_f64 v[2:3], s[28:29], v[3:4], -v[5:6]
	v_fma_f64 v[4:5], s[28:29], v[7:8], -v[9:10]
	s_waitcnt vmcnt(2)
	v_mul_f64 v[6:7], v[13:14], v[0:1]
	v_mul_f64 v[0:1], v[11:12], v[0:1]
	s_waitcnt vmcnt(1)
	v_mul_f64 v[8:9], v[17:18], v[25:26]
	v_mul_f64 v[25:26], v[15:16], v[25:26]
	v_fma_f64 v[6:7], v[11:12], v[2:3], -v[6:7]
	v_fma_f64 v[0:1], v[13:14], v[2:3], v[0:1]
	v_fma_f64 v[2:3], v[15:16], v[4:5], -v[8:9]
	v_fma_f64 v[4:5], v[17:18], v[4:5], v[25:26]
	v_add_f64 v[2:3], v[6:7], v[2:3]
	v_add_f64 v[4:5], v[0:1], v[4:5]
	s_waitcnt vmcnt(0)
	v_add_f64 v[0:1], v[19:20], v[2:3]
	v_add_f64 v[2:3], v[21:22], v[4:5]
	global_store_dwordx4 v[23:24], v[0:3], off
.LBB6_6:
	s_endpgm
.LBB6_7:
	v_cmp_gt_i32_e32 vcc_lo, s1, v0
	v_cmp_le_i32_e64 s0, v2, v0
	s_and_b32 s2, s0, vcc_lo
	s_and_b32 s2, s2, exec_lo
	s_cbranch_execnz .LBB6_4
.LBB6_8:
	v_cmp_gt_i32_e32 vcc_lo, s1, v2
	v_cmp_le_i32_e64 s0, v0, v2
	s_andn2_b32 s1, s2, exec_lo
	s_and_b32 s0, s0, vcc_lo
	s_and_b32 s0, s0, exec_lo
	s_or_b32 s2, s1, s0
	s_and_saveexec_b32 s0, s2
	s_cbranch_execnz .LBB6_5
	s_branch .LBB6_6
	.section	.rodata,"a",@progbits
	.p2align	6, 0x0
	.amdhsa_kernel _ZL19rocblas_syr2_kernelILi128ELi8ELi1EPK19rocblas_complex_numIdES3_PS1_EvbiT2_T3_lllS6_lllT4_llli
		.amdhsa_group_segment_fixed_size 0
		.amdhsa_private_segment_fixed_size 0
		.amdhsa_kernarg_size 376
		.amdhsa_user_sgpr_count 6
		.amdhsa_user_sgpr_private_segment_buffer 1
		.amdhsa_user_sgpr_dispatch_ptr 0
		.amdhsa_user_sgpr_queue_ptr 0
		.amdhsa_user_sgpr_kernarg_segment_ptr 1
		.amdhsa_user_sgpr_dispatch_id 0
		.amdhsa_user_sgpr_flat_scratch_init 0
		.amdhsa_user_sgpr_private_segment_size 0
		.amdhsa_wavefront_size32 1
		.amdhsa_uses_dynamic_stack 0
		.amdhsa_system_sgpr_private_segment_wavefront_offset 0
		.amdhsa_system_sgpr_workgroup_id_x 1
		.amdhsa_system_sgpr_workgroup_id_y 1
		.amdhsa_system_sgpr_workgroup_id_z 1
		.amdhsa_system_sgpr_workgroup_info 0
		.amdhsa_system_vgpr_workitem_id 1
		.amdhsa_next_free_vgpr 27
		.amdhsa_next_free_sgpr 32
		.amdhsa_reserve_vcc 1
		.amdhsa_reserve_flat_scratch 0
		.amdhsa_float_round_mode_32 0
		.amdhsa_float_round_mode_16_64 0
		.amdhsa_float_denorm_mode_32 3
		.amdhsa_float_denorm_mode_16_64 3
		.amdhsa_dx10_clamp 1
		.amdhsa_ieee_mode 1
		.amdhsa_fp16_overflow 0
		.amdhsa_workgroup_processor_mode 1
		.amdhsa_memory_ordered 1
		.amdhsa_forward_progress 1
		.amdhsa_shared_vgpr_count 0
		.amdhsa_exception_fp_ieee_invalid_op 0
		.amdhsa_exception_fp_denorm_src 0
		.amdhsa_exception_fp_ieee_div_zero 0
		.amdhsa_exception_fp_ieee_overflow 0
		.amdhsa_exception_fp_ieee_underflow 0
		.amdhsa_exception_fp_ieee_inexact 0
		.amdhsa_exception_int_div_zero 0
	.end_amdhsa_kernel
	.section	.text._ZL19rocblas_syr2_kernelILi128ELi8ELi1EPK19rocblas_complex_numIdES3_PS1_EvbiT2_T3_lllS6_lllT4_llli,"axG",@progbits,_ZL19rocblas_syr2_kernelILi128ELi8ELi1EPK19rocblas_complex_numIdES3_PS1_EvbiT2_T3_lllS6_lllT4_llli,comdat
.Lfunc_end6:
	.size	_ZL19rocblas_syr2_kernelILi128ELi8ELi1EPK19rocblas_complex_numIdES3_PS1_EvbiT2_T3_lllS6_lllT4_llli, .Lfunc_end6-_ZL19rocblas_syr2_kernelILi128ELi8ELi1EPK19rocblas_complex_numIdES3_PS1_EvbiT2_T3_lllS6_lllT4_llli
                                        ; -- End function
	.set _ZL19rocblas_syr2_kernelILi128ELi8ELi1EPK19rocblas_complex_numIdES3_PS1_EvbiT2_T3_lllS6_lllT4_llli.num_vgpr, 27
	.set _ZL19rocblas_syr2_kernelILi128ELi8ELi1EPK19rocblas_complex_numIdES3_PS1_EvbiT2_T3_lllS6_lllT4_llli.num_agpr, 0
	.set _ZL19rocblas_syr2_kernelILi128ELi8ELi1EPK19rocblas_complex_numIdES3_PS1_EvbiT2_T3_lllS6_lllT4_llli.numbered_sgpr, 32
	.set _ZL19rocblas_syr2_kernelILi128ELi8ELi1EPK19rocblas_complex_numIdES3_PS1_EvbiT2_T3_lllS6_lllT4_llli.num_named_barrier, 0
	.set _ZL19rocblas_syr2_kernelILi128ELi8ELi1EPK19rocblas_complex_numIdES3_PS1_EvbiT2_T3_lllS6_lllT4_llli.private_seg_size, 0
	.set _ZL19rocblas_syr2_kernelILi128ELi8ELi1EPK19rocblas_complex_numIdES3_PS1_EvbiT2_T3_lllS6_lllT4_llli.uses_vcc, 1
	.set _ZL19rocblas_syr2_kernelILi128ELi8ELi1EPK19rocblas_complex_numIdES3_PS1_EvbiT2_T3_lllS6_lllT4_llli.uses_flat_scratch, 0
	.set _ZL19rocblas_syr2_kernelILi128ELi8ELi1EPK19rocblas_complex_numIdES3_PS1_EvbiT2_T3_lllS6_lllT4_llli.has_dyn_sized_stack, 0
	.set _ZL19rocblas_syr2_kernelILi128ELi8ELi1EPK19rocblas_complex_numIdES3_PS1_EvbiT2_T3_lllS6_lllT4_llli.has_recursion, 0
	.set _ZL19rocblas_syr2_kernelILi128ELi8ELi1EPK19rocblas_complex_numIdES3_PS1_EvbiT2_T3_lllS6_lllT4_llli.has_indirect_call, 0
	.section	.AMDGPU.csdata,"",@progbits
; Kernel info:
; codeLenInByte = 912
; TotalNumSgprs: 34
; NumVgprs: 27
; ScratchSize: 0
; MemoryBound: 0
; FloatMode: 240
; IeeeMode: 1
; LDSByteSize: 0 bytes/workgroup (compile time only)
; SGPRBlocks: 0
; VGPRBlocks: 3
; NumSGPRsForWavesPerEU: 34
; NumVGPRsForWavesPerEU: 27
; Occupancy: 16
; WaveLimiterHint : 0
; COMPUTE_PGM_RSRC2:SCRATCH_EN: 0
; COMPUTE_PGM_RSRC2:USER_SGPR: 6
; COMPUTE_PGM_RSRC2:TRAP_HANDLER: 0
; COMPUTE_PGM_RSRC2:TGID_X_EN: 1
; COMPUTE_PGM_RSRC2:TGID_Y_EN: 1
; COMPUTE_PGM_RSRC2:TGID_Z_EN: 1
; COMPUTE_PGM_RSRC2:TIDIG_COMP_CNT: 1
	.section	.text._ZL19rocblas_syr2_kernelILi128ELi8ELi1E19rocblas_complex_numIdEPKS1_PS1_EvbiT2_T3_lllS6_lllT4_llli,"axG",@progbits,_ZL19rocblas_syr2_kernelILi128ELi8ELi1E19rocblas_complex_numIdEPKS1_PS1_EvbiT2_T3_lllS6_lllT4_llli,comdat
	.globl	_ZL19rocblas_syr2_kernelILi128ELi8ELi1E19rocblas_complex_numIdEPKS1_PS1_EvbiT2_T3_lllS6_lllT4_llli ; -- Begin function _ZL19rocblas_syr2_kernelILi128ELi8ELi1E19rocblas_complex_numIdEPKS1_PS1_EvbiT2_T3_lllS6_lllT4_llli
	.p2align	8
	.type	_ZL19rocblas_syr2_kernelILi128ELi8ELi1E19rocblas_complex_numIdEPKS1_PS1_EvbiT2_T3_lllS6_lllT4_llli,@function
_ZL19rocblas_syr2_kernelILi128ELi8ELi1E19rocblas_complex_numIdEPKS1_PS1_EvbiT2_T3_lllS6_lllT4_llli: ; @_ZL19rocblas_syr2_kernelILi128ELi8ELi1E19rocblas_complex_numIdEPKS1_PS1_EvbiT2_T3_lllS6_lllT4_llli
; %bb.0:
	s_load_dwordx2 s[0:1], s[4:5], 0x8c
	s_waitcnt lgkmcnt(0)
	s_lshr_b32 s2, s0, 16
	s_and_b32 s0, s0, 0xffff
	s_and_b32 s1, s1, 0xffff
	s_mul_i32 s0, s2, s0
	s_mul_i32 s0, s0, s1
	s_cmpk_lg_i32 s0, 0x400
	s_cbranch_scc1 .LBB7_6
; %bb.1:
	s_load_dwordx16 s[12:27], s[4:5], 0x8
	s_waitcnt lgkmcnt(0)
	v_cmp_neq_f64_e64 s0, s[12:13], 0
	v_cmp_neq_f64_e64 s1, s[14:15], 0
	s_or_b32 s0, s0, s1
	s_andn2_b32 vcc_lo, exec_lo, s0
	s_cbranch_vccnz .LBB7_6
; %bb.2:
	s_load_dwordx2 s[0:1], s[4:5], 0x0
	v_lshl_add_u32 v0, s6, 7, v0
	v_lshl_add_u32 v2, s7, 3, v1
	s_mov_b32 s2, 0
	s_waitcnt lgkmcnt(0)
	s_bitcmp0_b32 s0, 0
	s_mov_b32 s0, -1
	s_cbranch_scc1 .LBB7_7
; %bb.3:
	s_andn2_b32 vcc_lo, exec_lo, s0
	s_cbranch_vccz .LBB7_8
.LBB7_4:
	s_and_saveexec_b32 s0, s2
	s_cbranch_execz .LBB7_6
.LBB7_5:
	s_clause 0x1
	s_load_dwordx4 s[28:31], s[4:5], 0x68
	s_load_dwordx8 s[0:7], s[4:5], 0x48
	v_ashrrev_i32_e32 v1, 31, v0
	v_mul_lo_u32 v5, s21, v0
	v_mad_u64_u32 v[3:4], null, s20, v0, 0
	s_mul_i32 s9, s23, s8
	v_mul_lo_u32 v6, s20, v1
	s_mul_hi_u32 s11, s22, s8
	s_mul_i32 s10, s22, s8
	v_ashrrev_i32_e32 v19, 31, v2
	v_mul_lo_u32 v17, s21, v2
	v_mad_u64_u32 v[13:14], null, s20, v2, 0
	v_add3_u32 v4, v4, v6, v5
	v_mul_lo_u32 v18, s20, v19
	v_lshlrev_b64 v[3:4], 4, v[3:4]
	s_waitcnt lgkmcnt(0)
	s_mul_i32 s23, s31, s8
	s_mul_hi_u32 s31, s30, s8
	s_mul_i32 s22, s30, s8
	s_add_i32 s23, s31, s23
	v_mul_lo_u32 v7, s1, v0
	s_lshl_b64 s[22:23], s[22:23], 4
	v_mul_lo_u32 v8, s0, v1
	s_add_u32 s22, s4, s22
	s_addc_u32 s23, s5, s23
	s_lshl_b64 s[4:5], s[28:29], 4
	v_mad_u64_u32 v[5:6], null, s0, v0, 0
	s_add_u32 s22, s22, s4
	s_addc_u32 s23, s23, s5
	s_add_i32 s11, s11, s9
	s_mul_i32 s3, s3, s8
	s_lshl_b64 s[4:5], s[10:11], 4
	s_mul_hi_u32 s30, s2, s8
	s_add_u32 s9, s16, s4
	s_addc_u32 s10, s17, s5
	s_lshl_b64 s[4:5], s[18:19], 4
	v_add3_u32 v6, v6, v8, v7
	s_add_u32 s4, s9, s4
	s_mul_i32 s2, s2, s8
	s_addc_u32 s5, s10, s5
	s_add_i32 s3, s30, s3
	v_lshlrev_b64 v[5:6], 4, v[5:6]
	s_lshl_b64 s[2:3], s[2:3], 4
	v_add_co_u32 v3, vcc_lo, s4, v3
	s_add_u32 s8, s24, s2
	s_addc_u32 s9, s25, s3
	s_lshl_b64 s[2:3], s[26:27], 4
	v_add_co_ci_u32_e64 v4, null, s5, v4, vcc_lo
	s_add_u32 s2, s8, s2
	s_addc_u32 s3, s9, s3
	v_add_co_u32 v7, vcc_lo, s2, v5
	v_add_co_ci_u32_e64 v8, null, s3, v6, vcc_lo
	global_load_dwordx4 v[3:6], v[3:4], off
	global_load_dwordx4 v[7:10], v[7:8], off
	v_mul_lo_u32 v15, s1, v2
	v_mul_lo_u32 v16, s0, v19
	v_mad_u64_u32 v[11:12], null, s0, v2, 0
	v_add3_u32 v14, v14, v18, v17
	v_mul_lo_u32 v21, s7, v2
	v_mul_lo_u32 v22, s6, v19
	v_mad_u64_u32 v[19:20], null, s6, v2, 0
	v_lshlrev_b64 v[13:14], 4, v[13:14]
	v_add3_u32 v12, v12, v16, v15
	v_lshlrev_b64 v[0:1], 4, v[0:1]
	v_lshlrev_b64 v[11:12], 4, v[11:12]
	v_add3_u32 v20, v20, v22, v21
	v_add_co_u32 v11, vcc_lo, s2, v11
	v_add_co_ci_u32_e64 v12, null, s3, v12, vcc_lo
	v_add_co_u32 v15, vcc_lo, s4, v13
	v_add_co_ci_u32_e64 v16, null, s5, v14, vcc_lo
	global_load_dwordx4 v[11:14], v[11:12], off
	global_load_dwordx4 v[15:18], v[15:16], off
	v_lshlrev_b64 v[19:20], 4, v[19:20]
	v_add_co_u32 v2, vcc_lo, s22, v19
	v_add_co_ci_u32_e64 v19, null, s23, v20, vcc_lo
	v_add_co_u32 v23, vcc_lo, v2, v0
	v_add_co_ci_u32_e64 v24, null, v19, v1, vcc_lo
	global_load_dwordx4 v[19:22], v[23:24], off
	s_waitcnt vmcnt(4)
	v_mul_f64 v[0:1], s[12:13], v[5:6]
	s_waitcnt vmcnt(3)
	v_mul_f64 v[25:26], s[12:13], v[9:10]
	v_mul_f64 v[5:6], s[14:15], v[5:6]
	;; [unrolled: 1-line block ×3, first 2 shown]
	v_fma_f64 v[0:1], s[14:15], v[3:4], v[0:1]
	v_fma_f64 v[25:26], s[14:15], v[7:8], v[25:26]
	v_fma_f64 v[2:3], s[12:13], v[3:4], -v[5:6]
	v_fma_f64 v[4:5], s[12:13], v[7:8], -v[9:10]
	s_waitcnt vmcnt(2)
	v_mul_f64 v[6:7], v[13:14], v[0:1]
	v_mul_f64 v[0:1], v[11:12], v[0:1]
	s_waitcnt vmcnt(1)
	v_mul_f64 v[8:9], v[17:18], v[25:26]
	v_mul_f64 v[25:26], v[15:16], v[25:26]
	v_fma_f64 v[6:7], v[11:12], v[2:3], -v[6:7]
	v_fma_f64 v[0:1], v[13:14], v[2:3], v[0:1]
	v_fma_f64 v[2:3], v[15:16], v[4:5], -v[8:9]
	v_fma_f64 v[4:5], v[17:18], v[4:5], v[25:26]
	v_add_f64 v[2:3], v[6:7], v[2:3]
	v_add_f64 v[4:5], v[0:1], v[4:5]
	s_waitcnt vmcnt(0)
	v_add_f64 v[0:1], v[19:20], v[2:3]
	v_add_f64 v[2:3], v[21:22], v[4:5]
	global_store_dwordx4 v[23:24], v[0:3], off
.LBB7_6:
	s_endpgm
.LBB7_7:
	v_cmp_gt_i32_e32 vcc_lo, s1, v0
	v_cmp_le_i32_e64 s0, v2, v0
	s_and_b32 s2, s0, vcc_lo
	s_and_b32 s2, s2, exec_lo
	s_cbranch_execnz .LBB7_4
.LBB7_8:
	v_cmp_gt_i32_e32 vcc_lo, s1, v2
	v_cmp_le_i32_e64 s0, v0, v2
	s_andn2_b32 s1, s2, exec_lo
	s_and_b32 s0, s0, vcc_lo
	s_and_b32 s0, s0, exec_lo
	s_or_b32 s2, s1, s0
	s_and_saveexec_b32 s0, s2
	s_cbranch_execnz .LBB7_5
	s_branch .LBB7_6
	.section	.rodata,"a",@progbits
	.p2align	6, 0x0
	.amdhsa_kernel _ZL19rocblas_syr2_kernelILi128ELi8ELi1E19rocblas_complex_numIdEPKS1_PS1_EvbiT2_T3_lllS6_lllT4_llli
		.amdhsa_group_segment_fixed_size 0
		.amdhsa_private_segment_fixed_size 0
		.amdhsa_kernarg_size 384
		.amdhsa_user_sgpr_count 6
		.amdhsa_user_sgpr_private_segment_buffer 1
		.amdhsa_user_sgpr_dispatch_ptr 0
		.amdhsa_user_sgpr_queue_ptr 0
		.amdhsa_user_sgpr_kernarg_segment_ptr 1
		.amdhsa_user_sgpr_dispatch_id 0
		.amdhsa_user_sgpr_flat_scratch_init 0
		.amdhsa_user_sgpr_private_segment_size 0
		.amdhsa_wavefront_size32 1
		.amdhsa_uses_dynamic_stack 0
		.amdhsa_system_sgpr_private_segment_wavefront_offset 0
		.amdhsa_system_sgpr_workgroup_id_x 1
		.amdhsa_system_sgpr_workgroup_id_y 1
		.amdhsa_system_sgpr_workgroup_id_z 1
		.amdhsa_system_sgpr_workgroup_info 0
		.amdhsa_system_vgpr_workitem_id 1
		.amdhsa_next_free_vgpr 27
		.amdhsa_next_free_sgpr 32
		.amdhsa_reserve_vcc 1
		.amdhsa_reserve_flat_scratch 0
		.amdhsa_float_round_mode_32 0
		.amdhsa_float_round_mode_16_64 0
		.amdhsa_float_denorm_mode_32 3
		.amdhsa_float_denorm_mode_16_64 3
		.amdhsa_dx10_clamp 1
		.amdhsa_ieee_mode 1
		.amdhsa_fp16_overflow 0
		.amdhsa_workgroup_processor_mode 1
		.amdhsa_memory_ordered 1
		.amdhsa_forward_progress 1
		.amdhsa_shared_vgpr_count 0
		.amdhsa_exception_fp_ieee_invalid_op 0
		.amdhsa_exception_fp_denorm_src 0
		.amdhsa_exception_fp_ieee_div_zero 0
		.amdhsa_exception_fp_ieee_overflow 0
		.amdhsa_exception_fp_ieee_underflow 0
		.amdhsa_exception_fp_ieee_inexact 0
		.amdhsa_exception_int_div_zero 0
	.end_amdhsa_kernel
	.section	.text._ZL19rocblas_syr2_kernelILi128ELi8ELi1E19rocblas_complex_numIdEPKS1_PS1_EvbiT2_T3_lllS6_lllT4_llli,"axG",@progbits,_ZL19rocblas_syr2_kernelILi128ELi8ELi1E19rocblas_complex_numIdEPKS1_PS1_EvbiT2_T3_lllS6_lllT4_llli,comdat
.Lfunc_end7:
	.size	_ZL19rocblas_syr2_kernelILi128ELi8ELi1E19rocblas_complex_numIdEPKS1_PS1_EvbiT2_T3_lllS6_lllT4_llli, .Lfunc_end7-_ZL19rocblas_syr2_kernelILi128ELi8ELi1E19rocblas_complex_numIdEPKS1_PS1_EvbiT2_T3_lllS6_lllT4_llli
                                        ; -- End function
	.set _ZL19rocblas_syr2_kernelILi128ELi8ELi1E19rocblas_complex_numIdEPKS1_PS1_EvbiT2_T3_lllS6_lllT4_llli.num_vgpr, 27
	.set _ZL19rocblas_syr2_kernelILi128ELi8ELi1E19rocblas_complex_numIdEPKS1_PS1_EvbiT2_T3_lllS6_lllT4_llli.num_agpr, 0
	.set _ZL19rocblas_syr2_kernelILi128ELi8ELi1E19rocblas_complex_numIdEPKS1_PS1_EvbiT2_T3_lllS6_lllT4_llli.numbered_sgpr, 32
	.set _ZL19rocblas_syr2_kernelILi128ELi8ELi1E19rocblas_complex_numIdEPKS1_PS1_EvbiT2_T3_lllS6_lllT4_llli.num_named_barrier, 0
	.set _ZL19rocblas_syr2_kernelILi128ELi8ELi1E19rocblas_complex_numIdEPKS1_PS1_EvbiT2_T3_lllS6_lllT4_llli.private_seg_size, 0
	.set _ZL19rocblas_syr2_kernelILi128ELi8ELi1E19rocblas_complex_numIdEPKS1_PS1_EvbiT2_T3_lllS6_lllT4_llli.uses_vcc, 1
	.set _ZL19rocblas_syr2_kernelILi128ELi8ELi1E19rocblas_complex_numIdEPKS1_PS1_EvbiT2_T3_lllS6_lllT4_llli.uses_flat_scratch, 0
	.set _ZL19rocblas_syr2_kernelILi128ELi8ELi1E19rocblas_complex_numIdEPKS1_PS1_EvbiT2_T3_lllS6_lllT4_llli.has_dyn_sized_stack, 0
	.set _ZL19rocblas_syr2_kernelILi128ELi8ELi1E19rocblas_complex_numIdEPKS1_PS1_EvbiT2_T3_lllS6_lllT4_llli.has_recursion, 0
	.set _ZL19rocblas_syr2_kernelILi128ELi8ELi1E19rocblas_complex_numIdEPKS1_PS1_EvbiT2_T3_lllS6_lllT4_llli.has_indirect_call, 0
	.section	.AMDGPU.csdata,"",@progbits
; Kernel info:
; codeLenInByte = 900
; TotalNumSgprs: 34
; NumVgprs: 27
; ScratchSize: 0
; MemoryBound: 0
; FloatMode: 240
; IeeeMode: 1
; LDSByteSize: 0 bytes/workgroup (compile time only)
; SGPRBlocks: 0
; VGPRBlocks: 3
; NumSGPRsForWavesPerEU: 34
; NumVGPRsForWavesPerEU: 27
; Occupancy: 16
; WaveLimiterHint : 0
; COMPUTE_PGM_RSRC2:SCRATCH_EN: 0
; COMPUTE_PGM_RSRC2:USER_SGPR: 6
; COMPUTE_PGM_RSRC2:TRAP_HANDLER: 0
; COMPUTE_PGM_RSRC2:TGID_X_EN: 1
; COMPUTE_PGM_RSRC2:TGID_Y_EN: 1
; COMPUTE_PGM_RSRC2:TGID_Z_EN: 1
; COMPUTE_PGM_RSRC2:TIDIG_COMP_CNT: 1
	.section	.text._ZL19rocblas_syr2_kernelILi128ELi8ELi2EPKfPKS1_PKPfEvbiT2_T3_lllS8_lllT4_llli,"axG",@progbits,_ZL19rocblas_syr2_kernelILi128ELi8ELi2EPKfPKS1_PKPfEvbiT2_T3_lllS8_lllT4_llli,comdat
	.globl	_ZL19rocblas_syr2_kernelILi128ELi8ELi2EPKfPKS1_PKPfEvbiT2_T3_lllS8_lllT4_llli ; -- Begin function _ZL19rocblas_syr2_kernelILi128ELi8ELi2EPKfPKS1_PKPfEvbiT2_T3_lllS8_lllT4_llli
	.p2align	8
	.type	_ZL19rocblas_syr2_kernelILi128ELi8ELi2EPKfPKS1_PKPfEvbiT2_T3_lllS8_lllT4_llli,@function
_ZL19rocblas_syr2_kernelILi128ELi8ELi2EPKfPKS1_PKPfEvbiT2_T3_lllS8_lllT4_llli: ; @_ZL19rocblas_syr2_kernelILi128ELi8ELi2EPKfPKS1_PKPfEvbiT2_T3_lllS8_lllT4_llli
; %bb.0:
	s_load_dwordx2 s[0:1], s[4:5], 0x84
	s_waitcnt lgkmcnt(0)
	s_lshr_b32 s2, s0, 16
	s_and_b32 s0, s0, 0xffff
	s_and_b32 s1, s1, 0xffff
	s_mul_i32 s0, s2, s0
	s_mul_i32 s0, s0, s1
	s_cmpk_lg_i32 s0, 0x400
	s_cbranch_scc1 .LBB8_14
; %bb.1:
	s_load_dwordx8 s[12:19], s[4:5], 0x8
	s_mov_b32 s9, 0
	s_waitcnt lgkmcnt(0)
	s_load_dword s12, s[12:13], 0x0
	s_waitcnt lgkmcnt(0)
	v_cmp_eq_f32_e64 s0, s12, 0
	s_and_b32 vcc_lo, exec_lo, s0
	s_cbranch_vccnz .LBB8_14
; %bb.2:
	s_clause 0x3
	s_load_dwordx2 s[10:11], s[4:5], 0x0
	s_load_dwordx4 s[20:23], s[4:5], 0x50
	s_load_dwordx4 s[0:3], s[4:5], 0x30
	s_load_dwordx2 s[24:25], s[4:5], 0x60
	v_lshl_add_u32 v8, s7, 3, v1
	v_lshl_add_u32 v0, s6, 8, v0
	v_ashrrev_i32_e32 v3, 31, v8
	v_mul_lo_u32 v4, s19, v8
	v_mad_u64_u32 v[1:2], null, s18, v8, 0
	v_mul_lo_u32 v5, s18, v3
	s_waitcnt lgkmcnt(0)
	s_bitcmp1_b32 s10, 0
	v_mul_lo_u32 v13, s23, v8
	s_cselect_b32 s10, -1, 0
	s_lshl_b64 s[26:27], s[8:9], 3
	s_xor_b32 s10, s10, -1
	s_add_u32 s20, s20, s26
	s_addc_u32 s21, s21, s27
	s_lshl_b64 s[24:25], s[24:25], 2
	s_load_dwordx2 s[20:21], s[20:21], 0x0
	v_mad_u64_u32 v[9:10], null, s22, v8, 0
	v_add3_u32 v2, v2, v5, v4
	v_lshlrev_b64 v[4:5], 2, v[1:2]
	s_waitcnt lgkmcnt(0)
	s_add_u32 s13, s20, s24
	s_addc_u32 s20, s21, s25
	s_add_u32 s14, s14, s26
	s_addc_u32 s15, s15, s27
	s_load_dwordx2 s[4:5], s[4:5], 0x40
	s_load_dwordx2 s[14:15], s[14:15], 0x0
	s_lshl_b64 s[16:17], s[16:17], 2
	s_waitcnt lgkmcnt(0)
	v_mul_lo_u32 v11, s4, v3
	s_add_u32 s7, s14, s16
	s_addc_u32 s8, s15, s17
	s_add_u32 s0, s0, s26
	s_addc_u32 s1, s1, s27
	v_mul_lo_u32 v12, s5, v8
	s_load_dwordx2 s[14:15], s[0:1], 0x0
	v_mad_u64_u32 v[6:7], null, s4, v8, 0
	v_mul_lo_u32 v3, s22, v3
	v_cmp_le_i32_e64 s0, s11, v8
	s_lshl_b64 s[2:3], s[2:3], 2
	s_mov_b32 s1, -1
	v_add3_u32 v7, v7, v11, v12
	v_add3_u32 v10, v10, v3, v13
	v_lshlrev_b64 v[2:3], 2, v[6:7]
	v_lshlrev_b64 v[6:7], 2, v[9:10]
	s_waitcnt lgkmcnt(0)
	s_add_u32 s2, s14, s2
	s_addc_u32 s3, s15, s3
	s_and_b32 vcc_lo, exec_lo, s10
	s_cbranch_vccz .LBB8_4
; %bb.3:
	v_cmp_gt_i32_e32 vcc_lo, s11, v0
	v_cmp_le_i32_e64 s1, v8, v0
	s_and_b32 s6, s1, vcc_lo
	s_mov_b32 s1, 0
	s_and_b32 s9, s6, exec_lo
.LBB8_4:
	v_add_co_u32 v2, vcc_lo, s2, v2
	v_add_co_ci_u32_e64 v3, null, s3, v3, vcc_lo
	v_add_co_u32 v4, vcc_lo, s7, v4
	v_add_co_ci_u32_e64 v5, null, s8, v5, vcc_lo
	;; [unrolled: 2-line block ×3, first 2 shown]
	s_andn2_b32 vcc_lo, exec_lo, s1
	s_cbranch_vccz .LBB8_8
; %bb.5:
	v_ashrrev_i32_e32 v1, 31, v0
	s_and_saveexec_b32 s1, s9
	s_cbranch_execnz .LBB8_9
.LBB8_6:
	s_or_b32 exec_lo, exec_lo, s1
	v_add_nc_u32_e32 v9, 0x80, v0
	s_andn2_b32 vcc_lo, exec_lo, s10
	s_cbranch_vccnz .LBB8_10
.LBB8_7:
	v_cmp_gt_i32_e32 vcc_lo, s11, v9
	v_cmp_le_i32_e64 s1, v8, v9
	s_and_b32 s1, vcc_lo, s1
	s_and_b32 s1, s1, exec_lo
	s_cbranch_execz .LBB8_11
	s_branch .LBB8_12
.LBB8_8:
	v_cmp_le_i32_e32 vcc_lo, v0, v8
	s_xor_b32 s1, s0, -1
	s_andn2_b32 s6, s9, exec_lo
	s_and_b32 s1, vcc_lo, s1
	s_and_b32 s1, s1, exec_lo
	s_or_b32 s9, s6, s1
	v_ashrrev_i32_e32 v1, 31, v0
	s_and_saveexec_b32 s1, s9
	s_cbranch_execz .LBB8_6
.LBB8_9:
	v_mul_lo_u32 v13, s5, v0
	v_mul_lo_u32 v14, s4, v1
	v_mad_u64_u32 v[9:10], null, s4, v0, 0
	v_mul_lo_u32 v15, s19, v0
	v_mul_lo_u32 v16, s18, v1
	v_mad_u64_u32 v[11:12], null, s18, v0, 0
	v_add3_u32 v10, v10, v14, v13
	v_add3_u32 v12, v12, v16, v15
	v_lshlrev_b64 v[9:10], 2, v[9:10]
	v_lshlrev_b64 v[11:12], 2, v[11:12]
	v_add_co_u32 v9, vcc_lo, s2, v9
	v_add_co_ci_u32_e64 v10, null, s3, v10, vcc_lo
	v_add_co_u32 v11, vcc_lo, s7, v11
	v_add_co_ci_u32_e64 v12, null, s8, v12, vcc_lo
	flat_load_dword v13, v[9:10]
	v_lshlrev_b64 v[9:10], 2, v[0:1]
	s_clause 0x1
	flat_load_dword v11, v[11:12]
	flat_load_dword v12, v[4:5]
	flat_load_dword v14, v[2:3]
	v_add_co_u32 v9, vcc_lo, v6, v9
	v_add_co_ci_u32_e64 v10, null, v7, v10, vcc_lo
	flat_load_dword v15, v[9:10]
	s_waitcnt vmcnt(4) lgkmcnt(4)
	v_mul_f32_e32 v13, s12, v13
	s_waitcnt vmcnt(3) lgkmcnt(3)
	v_mul_f32_e32 v11, s12, v11
	;; [unrolled: 2-line block ×3, first 2 shown]
	s_waitcnt vmcnt(1) lgkmcnt(1)
	v_fmac_f32_e32 v12, v11, v14
	s_waitcnt vmcnt(0) lgkmcnt(0)
	v_add_f32_e32 v11, v15, v12
	flat_store_dword v[9:10], v11
	s_or_b32 exec_lo, exec_lo, s1
	v_add_nc_u32_e32 v9, 0x80, v0
	s_andn2_b32 vcc_lo, exec_lo, s10
	s_cbranch_vccz .LBB8_7
.LBB8_10:
	s_mov_b32 s1, 0
.LBB8_11:
	v_cmp_le_i32_e32 vcc_lo, v9, v8
	s_xor_b32 s0, s0, -1
	s_andn2_b32 s1, s1, exec_lo
	s_and_b32 s0, s0, vcc_lo
	s_and_b32 s0, s0, exec_lo
	s_or_b32 s1, s1, s0
.LBB8_12:
	s_and_saveexec_b32 s0, s1
	s_cbranch_execz .LBB8_14
; %bb.13:
	v_ashrrev_i32_e32 v12, 31, v9
	v_mul_lo_u32 v13, s5, v9
	v_mad_u64_u32 v[10:11], null, s4, v9, 0
	v_mul_lo_u32 v15, s19, v9
	v_mul_lo_u32 v14, s4, v12
	v_mad_u64_u32 v[8:9], null, s18, v9, 0
	v_mul_lo_u32 v12, s18, v12
	v_lshlrev_b64 v[0:1], 2, v[0:1]
	v_add3_u32 v11, v11, v14, v13
	v_add3_u32 v9, v9, v12, v15
	v_lshlrev_b64 v[10:11], 2, v[10:11]
	v_lshlrev_b64 v[8:9], 2, v[8:9]
	v_add_co_u32 v10, vcc_lo, s2, v10
	v_add_co_ci_u32_e64 v11, null, s3, v11, vcc_lo
	v_add_co_u32 v8, vcc_lo, s7, v8
	v_add_co_ci_u32_e64 v9, null, s8, v9, vcc_lo
	flat_load_dword v10, v[10:11]
	s_clause 0x1
	flat_load_dword v8, v[8:9]
	flat_load_dword v4, v[4:5]
	;; [unrolled: 1-line block ×3, first 2 shown]
	v_add_co_u32 v0, vcc_lo, v6, v0
	v_add_co_ci_u32_e64 v1, null, v7, v1, vcc_lo
	flat_load_dword v3, v[0:1] offset:512
	s_waitcnt vmcnt(4) lgkmcnt(4)
	v_mul_f32_e32 v5, s12, v10
	s_waitcnt vmcnt(3) lgkmcnt(3)
	v_mul_f32_e32 v6, s12, v8
	;; [unrolled: 2-line block ×3, first 2 shown]
	s_waitcnt vmcnt(1) lgkmcnt(1)
	v_fmac_f32_e32 v4, v6, v2
	s_waitcnt vmcnt(0) lgkmcnt(0)
	v_add_f32_e32 v2, v3, v4
	flat_store_dword v[0:1], v2 offset:512
.LBB8_14:
	s_endpgm
	.section	.rodata,"a",@progbits
	.p2align	6, 0x0
	.amdhsa_kernel _ZL19rocblas_syr2_kernelILi128ELi8ELi2EPKfPKS1_PKPfEvbiT2_T3_lllS8_lllT4_llli
		.amdhsa_group_segment_fixed_size 0
		.amdhsa_private_segment_fixed_size 0
		.amdhsa_kernarg_size 376
		.amdhsa_user_sgpr_count 6
		.amdhsa_user_sgpr_private_segment_buffer 1
		.amdhsa_user_sgpr_dispatch_ptr 0
		.amdhsa_user_sgpr_queue_ptr 0
		.amdhsa_user_sgpr_kernarg_segment_ptr 1
		.amdhsa_user_sgpr_dispatch_id 0
		.amdhsa_user_sgpr_flat_scratch_init 0
		.amdhsa_user_sgpr_private_segment_size 0
		.amdhsa_wavefront_size32 1
		.amdhsa_uses_dynamic_stack 0
		.amdhsa_system_sgpr_private_segment_wavefront_offset 0
		.amdhsa_system_sgpr_workgroup_id_x 1
		.amdhsa_system_sgpr_workgroup_id_y 1
		.amdhsa_system_sgpr_workgroup_id_z 1
		.amdhsa_system_sgpr_workgroup_info 0
		.amdhsa_system_vgpr_workitem_id 1
		.amdhsa_next_free_vgpr 17
		.amdhsa_next_free_sgpr 28
		.amdhsa_reserve_vcc 1
		.amdhsa_reserve_flat_scratch 1
		.amdhsa_float_round_mode_32 0
		.amdhsa_float_round_mode_16_64 0
		.amdhsa_float_denorm_mode_32 3
		.amdhsa_float_denorm_mode_16_64 3
		.amdhsa_dx10_clamp 1
		.amdhsa_ieee_mode 1
		.amdhsa_fp16_overflow 0
		.amdhsa_workgroup_processor_mode 1
		.amdhsa_memory_ordered 1
		.amdhsa_forward_progress 1
		.amdhsa_shared_vgpr_count 0
		.amdhsa_exception_fp_ieee_invalid_op 0
		.amdhsa_exception_fp_denorm_src 0
		.amdhsa_exception_fp_ieee_div_zero 0
		.amdhsa_exception_fp_ieee_overflow 0
		.amdhsa_exception_fp_ieee_underflow 0
		.amdhsa_exception_fp_ieee_inexact 0
		.amdhsa_exception_int_div_zero 0
	.end_amdhsa_kernel
	.section	.text._ZL19rocblas_syr2_kernelILi128ELi8ELi2EPKfPKS1_PKPfEvbiT2_T3_lllS8_lllT4_llli,"axG",@progbits,_ZL19rocblas_syr2_kernelILi128ELi8ELi2EPKfPKS1_PKPfEvbiT2_T3_lllS8_lllT4_llli,comdat
.Lfunc_end8:
	.size	_ZL19rocblas_syr2_kernelILi128ELi8ELi2EPKfPKS1_PKPfEvbiT2_T3_lllS8_lllT4_llli, .Lfunc_end8-_ZL19rocblas_syr2_kernelILi128ELi8ELi2EPKfPKS1_PKPfEvbiT2_T3_lllS8_lllT4_llli
                                        ; -- End function
	.set _ZL19rocblas_syr2_kernelILi128ELi8ELi2EPKfPKS1_PKPfEvbiT2_T3_lllS8_lllT4_llli.num_vgpr, 17
	.set _ZL19rocblas_syr2_kernelILi128ELi8ELi2EPKfPKS1_PKPfEvbiT2_T3_lllS8_lllT4_llli.num_agpr, 0
	.set _ZL19rocblas_syr2_kernelILi128ELi8ELi2EPKfPKS1_PKPfEvbiT2_T3_lllS8_lllT4_llli.numbered_sgpr, 28
	.set _ZL19rocblas_syr2_kernelILi128ELi8ELi2EPKfPKS1_PKPfEvbiT2_T3_lllS8_lllT4_llli.num_named_barrier, 0
	.set _ZL19rocblas_syr2_kernelILi128ELi8ELi2EPKfPKS1_PKPfEvbiT2_T3_lllS8_lllT4_llli.private_seg_size, 0
	.set _ZL19rocblas_syr2_kernelILi128ELi8ELi2EPKfPKS1_PKPfEvbiT2_T3_lllS8_lllT4_llli.uses_vcc, 1
	.set _ZL19rocblas_syr2_kernelILi128ELi8ELi2EPKfPKS1_PKPfEvbiT2_T3_lllS8_lllT4_llli.uses_flat_scratch, 1
	.set _ZL19rocblas_syr2_kernelILi128ELi8ELi2EPKfPKS1_PKPfEvbiT2_T3_lllS8_lllT4_llli.has_dyn_sized_stack, 0
	.set _ZL19rocblas_syr2_kernelILi128ELi8ELi2EPKfPKS1_PKPfEvbiT2_T3_lllS8_lllT4_llli.has_recursion, 0
	.set _ZL19rocblas_syr2_kernelILi128ELi8ELi2EPKfPKS1_PKPfEvbiT2_T3_lllS8_lllT4_llli.has_indirect_call, 0
	.section	.AMDGPU.csdata,"",@progbits
; Kernel info:
; codeLenInByte = 1108
; TotalNumSgprs: 30
; NumVgprs: 17
; ScratchSize: 0
; MemoryBound: 0
; FloatMode: 240
; IeeeMode: 1
; LDSByteSize: 0 bytes/workgroup (compile time only)
; SGPRBlocks: 0
; VGPRBlocks: 2
; NumSGPRsForWavesPerEU: 30
; NumVGPRsForWavesPerEU: 17
; Occupancy: 16
; WaveLimiterHint : 1
; COMPUTE_PGM_RSRC2:SCRATCH_EN: 0
; COMPUTE_PGM_RSRC2:USER_SGPR: 6
; COMPUTE_PGM_RSRC2:TRAP_HANDLER: 0
; COMPUTE_PGM_RSRC2:TGID_X_EN: 1
; COMPUTE_PGM_RSRC2:TGID_Y_EN: 1
; COMPUTE_PGM_RSRC2:TGID_Z_EN: 1
; COMPUTE_PGM_RSRC2:TIDIG_COMP_CNT: 1
	.section	.text._ZL19rocblas_syr2_kernelILi128ELi8ELi2EfPKPKfPKPfEvbiT2_T3_lllS8_lllT4_llli,"axG",@progbits,_ZL19rocblas_syr2_kernelILi128ELi8ELi2EfPKPKfPKPfEvbiT2_T3_lllS8_lllT4_llli,comdat
	.globl	_ZL19rocblas_syr2_kernelILi128ELi8ELi2EfPKPKfPKPfEvbiT2_T3_lllS8_lllT4_llli ; -- Begin function _ZL19rocblas_syr2_kernelILi128ELi8ELi2EfPKPKfPKPfEvbiT2_T3_lllS8_lllT4_llli
	.p2align	8
	.type	_ZL19rocblas_syr2_kernelILi128ELi8ELi2EfPKPKfPKPfEvbiT2_T3_lllS8_lllT4_llli,@function
_ZL19rocblas_syr2_kernelILi128ELi8ELi2EfPKPKfPKPfEvbiT2_T3_lllS8_lllT4_llli: ; @_ZL19rocblas_syr2_kernelILi128ELi8ELi2EfPKPKfPKPfEvbiT2_T3_lllS8_lllT4_llli
; %bb.0:
	s_clause 0x1
	s_load_dwordx2 s[0:1], s[4:5], 0x84
	s_load_dwordx4 s[12:15], s[4:5], 0x0
	s_mov_b32 s9, 0
	s_waitcnt lgkmcnt(0)
	s_lshr_b32 s2, s0, 16
	s_and_b32 s0, s0, 0xffff
	s_and_b32 s1, s1, 0xffff
	s_mul_i32 s0, s2, s0
	s_mul_i32 s0, s0, s1
	v_cmp_eq_f32_e64 s1, s14, 0
	s_cmpk_lg_i32 s0, 0x400
	s_cselect_b32 s0, -1, 0
	s_or_b32 s0, s1, s0
	s_and_b32 vcc_lo, exec_lo, s0
	s_cbranch_vccnz .LBB9_13
; %bb.1:
	s_clause 0x1
	s_load_dwordx4 s[0:3], s[4:5], 0x50
	s_load_dwordx2 s[16:17], s[4:5], 0x60
	s_bitcmp1_b32 s12, 0
	v_lshl_add_u32 v8, s7, 3, v1
	s_cselect_b32 s10, -1, 0
	s_lshl_b64 s[18:19], s[8:9], 3
	s_xor_b32 s8, s10, -1
	v_lshl_add_u32 v0, s6, 8, v0
	v_ashrrev_i32_e32 v3, 31, v8
	s_waitcnt lgkmcnt(0)
	s_add_u32 s0, s0, s18
	s_addc_u32 s1, s1, s19
	s_lshl_b64 s[24:25], s[16:17], 2
	s_load_dwordx2 s[0:1], s[0:1], 0x0
	s_clause 0x2
	s_load_dwordx4 s[20:23], s[4:5], 0x10
	s_load_dwordx2 s[10:11], s[4:5], 0x20
	s_load_dwordx2 s[16:17], s[4:5], 0x40
	v_mul_lo_u32 v13, s3, v8
	v_mad_u64_u32 v[6:7], null, s2, v8, 0
	s_waitcnt lgkmcnt(0)
	s_add_u32 s12, s0, s24
	s_addc_u32 s15, s1, s25
	s_add_u32 s0, s20, s18
	s_addc_u32 s1, s21, s19
	v_mul_lo_u32 v9, s16, v3
	s_load_dwordx2 s[0:1], s[0:1], 0x0
	s_load_dwordx4 s[24:27], s[4:5], 0x30
	s_lshl_b64 s[4:5], s[22:23], 2
	v_mul_lo_u32 v10, s17, v8
	v_mad_u64_u32 v[1:2], null, s16, v8, 0
	v_mul_lo_u32 v11, s10, v3
	v_mul_lo_u32 v12, s11, v8
	v_mad_u64_u32 v[4:5], null, s10, v8, 0
	v_mul_lo_u32 v3, s2, v3
	v_add3_u32 v2, v2, v9, v10
	v_add3_u32 v5, v5, v11, v12
	;; [unrolled: 1-line block ×3, first 2 shown]
	v_lshlrev_b64 v[2:3], 2, v[1:2]
	s_waitcnt lgkmcnt(0)
	s_add_u32 s4, s0, s4
	s_addc_u32 s5, s1, s5
	s_add_u32 s0, s24, s18
	s_addc_u32 s1, s25, s19
	v_lshlrev_b64 v[4:5], 2, v[4:5]
	s_load_dwordx2 s[18:19], s[0:1], 0x0
	v_lshlrev_b64 v[6:7], 2, v[6:7]
	v_cmp_le_i32_e64 s0, s13, v8
	s_lshl_b64 s[2:3], s[26:27], 2
	s_mov_b32 s1, -1
	s_waitcnt lgkmcnt(0)
	s_add_u32 s2, s18, s2
	s_addc_u32 s3, s19, s3
	s_and_b32 vcc_lo, exec_lo, s8
	s_cbranch_vccz .LBB9_3
; %bb.2:
	v_cmp_gt_i32_e32 vcc_lo, s13, v0
	v_cmp_le_i32_e64 s1, v8, v0
	s_and_b32 s6, s1, vcc_lo
	s_mov_b32 s1, 0
	s_and_b32 s9, s6, exec_lo
.LBB9_3:
	v_add_co_u32 v2, vcc_lo, s2, v2
	v_add_co_ci_u32_e64 v3, null, s3, v3, vcc_lo
	v_add_co_u32 v4, vcc_lo, s4, v4
	v_add_co_ci_u32_e64 v5, null, s5, v5, vcc_lo
	;; [unrolled: 2-line block ×3, first 2 shown]
	s_andn2_b32 vcc_lo, exec_lo, s1
	s_cbranch_vccz .LBB9_7
; %bb.4:
	v_ashrrev_i32_e32 v1, 31, v0
	s_and_saveexec_b32 s1, s9
	s_cbranch_execnz .LBB9_8
.LBB9_5:
	s_or_b32 exec_lo, exec_lo, s1
	v_add_nc_u32_e32 v9, 0x80, v0
	s_andn2_b32 vcc_lo, exec_lo, s8
	s_cbranch_vccnz .LBB9_9
.LBB9_6:
	v_cmp_gt_i32_e32 vcc_lo, s13, v9
	v_cmp_le_i32_e64 s1, v8, v9
	s_and_b32 s1, vcc_lo, s1
	s_and_b32 s1, s1, exec_lo
	s_cbranch_execz .LBB9_10
	s_branch .LBB9_11
.LBB9_7:
	v_cmp_le_i32_e32 vcc_lo, v0, v8
	s_xor_b32 s1, s0, -1
	s_andn2_b32 s6, s9, exec_lo
	s_and_b32 s1, vcc_lo, s1
	s_and_b32 s1, s1, exec_lo
	s_or_b32 s9, s6, s1
	v_ashrrev_i32_e32 v1, 31, v0
	s_and_saveexec_b32 s1, s9
	s_cbranch_execz .LBB9_5
.LBB9_8:
	v_mul_lo_u32 v13, s17, v0
	v_mul_lo_u32 v14, s16, v1
	v_mad_u64_u32 v[9:10], null, s16, v0, 0
	v_mul_lo_u32 v15, s11, v0
	v_mul_lo_u32 v16, s10, v1
	v_mad_u64_u32 v[11:12], null, s10, v0, 0
	v_add3_u32 v10, v10, v14, v13
	v_add3_u32 v12, v12, v16, v15
	v_lshlrev_b64 v[9:10], 2, v[9:10]
	v_lshlrev_b64 v[11:12], 2, v[11:12]
	v_add_co_u32 v9, vcc_lo, s2, v9
	v_add_co_ci_u32_e64 v10, null, s3, v10, vcc_lo
	v_add_co_u32 v11, vcc_lo, s4, v11
	v_add_co_ci_u32_e64 v12, null, s5, v12, vcc_lo
	flat_load_dword v13, v[9:10]
	v_lshlrev_b64 v[9:10], 2, v[0:1]
	s_clause 0x1
	flat_load_dword v11, v[11:12]
	flat_load_dword v12, v[4:5]
	;; [unrolled: 1-line block ×3, first 2 shown]
	v_add_co_u32 v9, vcc_lo, v6, v9
	v_add_co_ci_u32_e64 v10, null, v7, v10, vcc_lo
	flat_load_dword v15, v[9:10]
	s_waitcnt vmcnt(4) lgkmcnt(4)
	v_mul_f32_e32 v13, s14, v13
	s_waitcnt vmcnt(3) lgkmcnt(3)
	v_mul_f32_e32 v11, s14, v11
	;; [unrolled: 2-line block ×3, first 2 shown]
	s_waitcnt vmcnt(1) lgkmcnt(1)
	v_fmac_f32_e32 v12, v11, v14
	s_waitcnt vmcnt(0) lgkmcnt(0)
	v_add_f32_e32 v11, v15, v12
	flat_store_dword v[9:10], v11
	s_or_b32 exec_lo, exec_lo, s1
	v_add_nc_u32_e32 v9, 0x80, v0
	s_andn2_b32 vcc_lo, exec_lo, s8
	s_cbranch_vccz .LBB9_6
.LBB9_9:
	s_mov_b32 s1, 0
.LBB9_10:
	v_cmp_le_i32_e32 vcc_lo, v9, v8
	s_xor_b32 s0, s0, -1
	s_andn2_b32 s1, s1, exec_lo
	s_and_b32 s0, s0, vcc_lo
	s_and_b32 s0, s0, exec_lo
	s_or_b32 s1, s1, s0
.LBB9_11:
	s_and_saveexec_b32 s0, s1
	s_cbranch_execz .LBB9_13
; %bb.12:
	v_ashrrev_i32_e32 v12, 31, v9
	v_mul_lo_u32 v13, s17, v9
	v_mad_u64_u32 v[10:11], null, s16, v9, 0
	v_mul_lo_u32 v15, s11, v9
	v_mul_lo_u32 v14, s16, v12
	v_mad_u64_u32 v[8:9], null, s10, v9, 0
	v_mul_lo_u32 v12, s10, v12
	v_lshlrev_b64 v[0:1], 2, v[0:1]
	v_add3_u32 v11, v11, v14, v13
	v_add3_u32 v9, v9, v12, v15
	v_lshlrev_b64 v[10:11], 2, v[10:11]
	v_lshlrev_b64 v[8:9], 2, v[8:9]
	v_add_co_u32 v10, vcc_lo, s2, v10
	v_add_co_ci_u32_e64 v11, null, s3, v11, vcc_lo
	v_add_co_u32 v8, vcc_lo, s4, v8
	v_add_co_ci_u32_e64 v9, null, s5, v9, vcc_lo
	flat_load_dword v10, v[10:11]
	s_clause 0x1
	flat_load_dword v8, v[8:9]
	flat_load_dword v4, v[4:5]
	;; [unrolled: 1-line block ×3, first 2 shown]
	v_add_co_u32 v0, vcc_lo, v6, v0
	v_add_co_ci_u32_e64 v1, null, v7, v1, vcc_lo
	flat_load_dword v3, v[0:1] offset:512
	s_waitcnt vmcnt(4) lgkmcnt(4)
	v_mul_f32_e32 v5, s14, v10
	s_waitcnt vmcnt(3) lgkmcnt(3)
	v_mul_f32_e32 v6, s14, v8
	;; [unrolled: 2-line block ×3, first 2 shown]
	s_waitcnt vmcnt(1) lgkmcnt(1)
	v_fmac_f32_e32 v4, v6, v2
	s_waitcnt vmcnt(0) lgkmcnt(0)
	v_add_f32_e32 v2, v3, v4
	flat_store_dword v[0:1], v2 offset:512
.LBB9_13:
	s_endpgm
	.section	.rodata,"a",@progbits
	.p2align	6, 0x0
	.amdhsa_kernel _ZL19rocblas_syr2_kernelILi128ELi8ELi2EfPKPKfPKPfEvbiT2_T3_lllS8_lllT4_llli
		.amdhsa_group_segment_fixed_size 0
		.amdhsa_private_segment_fixed_size 0
		.amdhsa_kernarg_size 376
		.amdhsa_user_sgpr_count 6
		.amdhsa_user_sgpr_private_segment_buffer 1
		.amdhsa_user_sgpr_dispatch_ptr 0
		.amdhsa_user_sgpr_queue_ptr 0
		.amdhsa_user_sgpr_kernarg_segment_ptr 1
		.amdhsa_user_sgpr_dispatch_id 0
		.amdhsa_user_sgpr_flat_scratch_init 0
		.amdhsa_user_sgpr_private_segment_size 0
		.amdhsa_wavefront_size32 1
		.amdhsa_uses_dynamic_stack 0
		.amdhsa_system_sgpr_private_segment_wavefront_offset 0
		.amdhsa_system_sgpr_workgroup_id_x 1
		.amdhsa_system_sgpr_workgroup_id_y 1
		.amdhsa_system_sgpr_workgroup_id_z 1
		.amdhsa_system_sgpr_workgroup_info 0
		.amdhsa_system_vgpr_workitem_id 1
		.amdhsa_next_free_vgpr 17
		.amdhsa_next_free_sgpr 28
		.amdhsa_reserve_vcc 1
		.amdhsa_reserve_flat_scratch 1
		.amdhsa_float_round_mode_32 0
		.amdhsa_float_round_mode_16_64 0
		.amdhsa_float_denorm_mode_32 3
		.amdhsa_float_denorm_mode_16_64 3
		.amdhsa_dx10_clamp 1
		.amdhsa_ieee_mode 1
		.amdhsa_fp16_overflow 0
		.amdhsa_workgroup_processor_mode 1
		.amdhsa_memory_ordered 1
		.amdhsa_forward_progress 1
		.amdhsa_shared_vgpr_count 0
		.amdhsa_exception_fp_ieee_invalid_op 0
		.amdhsa_exception_fp_denorm_src 0
		.amdhsa_exception_fp_ieee_div_zero 0
		.amdhsa_exception_fp_ieee_overflow 0
		.amdhsa_exception_fp_ieee_underflow 0
		.amdhsa_exception_fp_ieee_inexact 0
		.amdhsa_exception_int_div_zero 0
	.end_amdhsa_kernel
	.section	.text._ZL19rocblas_syr2_kernelILi128ELi8ELi2EfPKPKfPKPfEvbiT2_T3_lllS8_lllT4_llli,"axG",@progbits,_ZL19rocblas_syr2_kernelILi128ELi8ELi2EfPKPKfPKPfEvbiT2_T3_lllS8_lllT4_llli,comdat
.Lfunc_end9:
	.size	_ZL19rocblas_syr2_kernelILi128ELi8ELi2EfPKPKfPKPfEvbiT2_T3_lllS8_lllT4_llli, .Lfunc_end9-_ZL19rocblas_syr2_kernelILi128ELi8ELi2EfPKPKfPKPfEvbiT2_T3_lllS8_lllT4_llli
                                        ; -- End function
	.set _ZL19rocblas_syr2_kernelILi128ELi8ELi2EfPKPKfPKPfEvbiT2_T3_lllS8_lllT4_llli.num_vgpr, 17
	.set _ZL19rocblas_syr2_kernelILi128ELi8ELi2EfPKPKfPKPfEvbiT2_T3_lllS8_lllT4_llli.num_agpr, 0
	.set _ZL19rocblas_syr2_kernelILi128ELi8ELi2EfPKPKfPKPfEvbiT2_T3_lllS8_lllT4_llli.numbered_sgpr, 28
	.set _ZL19rocblas_syr2_kernelILi128ELi8ELi2EfPKPKfPKPfEvbiT2_T3_lllS8_lllT4_llli.num_named_barrier, 0
	.set _ZL19rocblas_syr2_kernelILi128ELi8ELi2EfPKPKfPKPfEvbiT2_T3_lllS8_lllT4_llli.private_seg_size, 0
	.set _ZL19rocblas_syr2_kernelILi128ELi8ELi2EfPKPKfPKPfEvbiT2_T3_lllS8_lllT4_llli.uses_vcc, 1
	.set _ZL19rocblas_syr2_kernelILi128ELi8ELi2EfPKPKfPKPfEvbiT2_T3_lllS8_lllT4_llli.uses_flat_scratch, 1
	.set _ZL19rocblas_syr2_kernelILi128ELi8ELi2EfPKPKfPKPfEvbiT2_T3_lllS8_lllT4_llli.has_dyn_sized_stack, 0
	.set _ZL19rocblas_syr2_kernelILi128ELi8ELi2EfPKPKfPKPfEvbiT2_T3_lllS8_lllT4_llli.has_recursion, 0
	.set _ZL19rocblas_syr2_kernelILi128ELi8ELi2EfPKPKfPKPfEvbiT2_T3_lllS8_lllT4_llli.has_indirect_call, 0
	.section	.AMDGPU.csdata,"",@progbits
; Kernel info:
; codeLenInByte = 1112
; TotalNumSgprs: 30
; NumVgprs: 17
; ScratchSize: 0
; MemoryBound: 0
; FloatMode: 240
; IeeeMode: 1
; LDSByteSize: 0 bytes/workgroup (compile time only)
; SGPRBlocks: 0
; VGPRBlocks: 2
; NumSGPRsForWavesPerEU: 30
; NumVGPRsForWavesPerEU: 17
; Occupancy: 16
; WaveLimiterHint : 1
; COMPUTE_PGM_RSRC2:SCRATCH_EN: 0
; COMPUTE_PGM_RSRC2:USER_SGPR: 6
; COMPUTE_PGM_RSRC2:TRAP_HANDLER: 0
; COMPUTE_PGM_RSRC2:TGID_X_EN: 1
; COMPUTE_PGM_RSRC2:TGID_Y_EN: 1
; COMPUTE_PGM_RSRC2:TGID_Z_EN: 1
; COMPUTE_PGM_RSRC2:TIDIG_COMP_CNT: 1
	.section	.text._ZL19rocblas_syr2_kernelILi128ELi8ELi1EPKdPKS1_PKPdEvbiT2_T3_lllS8_lllT4_llli,"axG",@progbits,_ZL19rocblas_syr2_kernelILi128ELi8ELi1EPKdPKS1_PKPdEvbiT2_T3_lllS8_lllT4_llli,comdat
	.globl	_ZL19rocblas_syr2_kernelILi128ELi8ELi1EPKdPKS1_PKPdEvbiT2_T3_lllS8_lllT4_llli ; -- Begin function _ZL19rocblas_syr2_kernelILi128ELi8ELi1EPKdPKS1_PKPdEvbiT2_T3_lllS8_lllT4_llli
	.p2align	8
	.type	_ZL19rocblas_syr2_kernelILi128ELi8ELi1EPKdPKS1_PKPdEvbiT2_T3_lllS8_lllT4_llli,@function
_ZL19rocblas_syr2_kernelILi128ELi8ELi1EPKdPKS1_PKPdEvbiT2_T3_lllS8_lllT4_llli: ; @_ZL19rocblas_syr2_kernelILi128ELi8ELi1EPKdPKS1_PKPdEvbiT2_T3_lllS8_lllT4_llli
; %bb.0:
	s_load_dwordx2 s[0:1], s[4:5], 0x84
	s_waitcnt lgkmcnt(0)
	s_lshr_b32 s2, s0, 16
	s_and_b32 s0, s0, 0xffff
	s_and_b32 s1, s1, 0xffff
	s_mul_i32 s0, s2, s0
	s_mul_i32 s0, s0, s1
	s_cmpk_lg_i32 s0, 0x400
	s_cbranch_scc1 .LBB10_6
; %bb.1:
	s_load_dwordx8 s[12:19], s[4:5], 0x8
	s_waitcnt lgkmcnt(0)
	s_load_dwordx2 s[10:11], s[12:13], 0x0
	s_waitcnt lgkmcnt(0)
	v_cmp_eq_f64_e64 s0, s[10:11], 0
	s_and_b32 vcc_lo, exec_lo, s0
	s_cbranch_vccnz .LBB10_6
; %bb.2:
	s_clause 0x2
	s_load_dwordx2 s[24:25], s[4:5], 0x0
	s_load_dwordx4 s[0:3], s[4:5], 0x50
	s_load_dwordx4 s[20:23], s[4:5], 0x30
	s_mov_b32 s9, 0
	v_lshl_add_u32 v0, s6, 7, v0
	s_lshl_b64 s[26:27], s[8:9], 3
	v_lshl_add_u32 v2, s7, 3, v1
	s_waitcnt lgkmcnt(0)
	s_and_b32 s8, s24, 1
	s_add_u32 s12, s0, s26
	s_addc_u32 s13, s1, s27
	s_add_u32 s14, s14, s26
	s_addc_u32 s15, s15, s27
	;; [unrolled: 2-line block ×3, first 2 shown]
	s_cmp_eq_u32 s8, 0
	s_mov_b32 s0, -1
	s_cbranch_scc1 .LBB10_7
; %bb.3:
	s_andn2_b32 vcc_lo, exec_lo, s0
	s_cbranch_vccz .LBB10_8
.LBB10_4:
	s_and_saveexec_b32 s0, s9
	s_cbranch_execz .LBB10_6
.LBB10_5:
	s_clause 0x1
	s_load_dwordx2 s[0:1], s[4:5], 0x40
	s_load_dwordx2 s[4:5], s[4:5], 0x60
	;; [unrolled: 1-line block ×4, first 2 shown]
	v_ashrrev_i32_e32 v1, 31, v0
	s_load_dwordx2 s[6:7], s[6:7], 0x0
	v_ashrrev_i32_e32 v11, 31, v2
	v_mul_lo_u32 v9, s19, v2
	v_mad_u64_u32 v[5:6], null, s18, v2, 0
	v_mul_lo_u32 v13, s19, v0
	v_mad_u64_u32 v[7:8], null, s18, v0, 0
	v_mul_lo_u32 v14, s2, v11
	s_waitcnt lgkmcnt(0)
	v_mul_lo_u32 v10, s1, v0
	v_mul_lo_u32 v12, s0, v1
	v_mad_u64_u32 v[3:4], null, s0, v0, 0
	s_lshl_b64 s[4:5], s[4:5], 3
	s_add_u32 s8, s8, s4
	s_addc_u32 s9, s9, s5
	s_lshl_b64 s[4:5], s[16:17], 3
	v_add3_u32 v4, v4, v12, v10
	s_add_u32 s12, s12, s4
	s_addc_u32 s13, s13, s5
	s_lshl_b64 s[4:5], s[22:23], 3
	v_mul_lo_u32 v10, s18, v11
	v_lshlrev_b64 v[3:4], 3, v[3:4]
	s_add_u32 s4, s6, s4
	s_addc_u32 s5, s7, s5
	v_mul_lo_u32 v12, s18, v1
	v_lshlrev_b64 v[0:1], 3, v[0:1]
	v_add_co_u32 v3, vcc_lo, s4, v3
	v_add_co_ci_u32_e64 v4, null, s5, v4, vcc_lo
	v_add3_u32 v6, v6, v10, v9
	v_add3_u32 v8, v8, v12, v13
	v_mul_lo_u32 v12, s1, v2
	flat_load_dwordx2 v[3:4], v[3:4]
	v_mul_lo_u32 v13, s0, v11
	v_lshlrev_b64 v[5:6], 3, v[5:6]
	v_lshlrev_b64 v[7:8], 3, v[7:8]
	v_mad_u64_u32 v[9:10], null, s0, v2, 0
	v_add_co_u32 v5, vcc_lo, s12, v5
	v_add_co_ci_u32_e64 v6, null, s13, v6, vcc_lo
	v_add_co_u32 v7, vcc_lo, s12, v7
	v_add_co_ci_u32_e64 v8, null, s13, v8, vcc_lo
	s_clause 0x1
	flat_load_dwordx2 v[7:8], v[7:8]
	flat_load_dwordx2 v[5:6], v[5:6]
	v_add3_u32 v10, v10, v13, v12
	v_mul_lo_u32 v13, s3, v2
	v_mad_u64_u32 v[11:12], null, s2, v2, 0
	v_lshlrev_b64 v[9:10], 3, v[9:10]
	v_add3_u32 v12, v12, v14, v13
	v_add_co_u32 v9, vcc_lo, s4, v9
	v_add_co_ci_u32_e64 v10, null, s5, v10, vcc_lo
	v_lshlrev_b64 v[11:12], 3, v[11:12]
	flat_load_dwordx2 v[9:10], v[9:10]
	v_add_co_u32 v2, vcc_lo, s8, v11
	v_add_co_ci_u32_e64 v11, null, s9, v12, vcc_lo
	v_add_co_u32 v0, vcc_lo, v2, v0
	v_add_co_ci_u32_e64 v1, null, v11, v1, vcc_lo
	flat_load_dwordx2 v[11:12], v[0:1]
	s_waitcnt vmcnt(4) lgkmcnt(4)
	v_mul_f64 v[2:3], s[10:11], v[3:4]
	s_waitcnt vmcnt(3) lgkmcnt(3)
	v_mul_f64 v[7:8], s[10:11], v[7:8]
	;; [unrolled: 2-line block ×3, first 2 shown]
	s_waitcnt vmcnt(1) lgkmcnt(1)
	v_fma_f64 v[2:3], v[7:8], v[9:10], v[2:3]
	s_waitcnt vmcnt(0) lgkmcnt(0)
	v_add_f64 v[2:3], v[11:12], v[2:3]
	flat_store_dwordx2 v[0:1], v[2:3]
.LBB10_6:
	s_endpgm
.LBB10_7:
	v_cmp_gt_i32_e32 vcc_lo, s25, v0
	v_cmp_le_i32_e64 s0, v2, v0
	s_and_b32 s1, s0, vcc_lo
	s_and_b32 s9, s1, exec_lo
	s_cbranch_execnz .LBB10_4
.LBB10_8:
	v_cmp_gt_i32_e32 vcc_lo, s25, v2
	v_cmp_le_i32_e64 s0, v0, v2
	s_andn2_b32 s1, s9, exec_lo
	s_and_b32 s0, s0, vcc_lo
	s_and_b32 s0, s0, exec_lo
	s_or_b32 s9, s1, s0
	s_and_saveexec_b32 s0, s9
	s_cbranch_execnz .LBB10_5
	s_branch .LBB10_6
	.section	.rodata,"a",@progbits
	.p2align	6, 0x0
	.amdhsa_kernel _ZL19rocblas_syr2_kernelILi128ELi8ELi1EPKdPKS1_PKPdEvbiT2_T3_lllS8_lllT4_llli
		.amdhsa_group_segment_fixed_size 0
		.amdhsa_private_segment_fixed_size 0
		.amdhsa_kernarg_size 376
		.amdhsa_user_sgpr_count 6
		.amdhsa_user_sgpr_private_segment_buffer 1
		.amdhsa_user_sgpr_dispatch_ptr 0
		.amdhsa_user_sgpr_queue_ptr 0
		.amdhsa_user_sgpr_kernarg_segment_ptr 1
		.amdhsa_user_sgpr_dispatch_id 0
		.amdhsa_user_sgpr_flat_scratch_init 0
		.amdhsa_user_sgpr_private_segment_size 0
		.amdhsa_wavefront_size32 1
		.amdhsa_uses_dynamic_stack 0
		.amdhsa_system_sgpr_private_segment_wavefront_offset 0
		.amdhsa_system_sgpr_workgroup_id_x 1
		.amdhsa_system_sgpr_workgroup_id_y 1
		.amdhsa_system_sgpr_workgroup_id_z 1
		.amdhsa_system_sgpr_workgroup_info 0
		.amdhsa_system_vgpr_workitem_id 1
		.amdhsa_next_free_vgpr 15
		.amdhsa_next_free_sgpr 28
		.amdhsa_reserve_vcc 1
		.amdhsa_reserve_flat_scratch 1
		.amdhsa_float_round_mode_32 0
		.amdhsa_float_round_mode_16_64 0
		.amdhsa_float_denorm_mode_32 3
		.amdhsa_float_denorm_mode_16_64 3
		.amdhsa_dx10_clamp 1
		.amdhsa_ieee_mode 1
		.amdhsa_fp16_overflow 0
		.amdhsa_workgroup_processor_mode 1
		.amdhsa_memory_ordered 1
		.amdhsa_forward_progress 1
		.amdhsa_shared_vgpr_count 0
		.amdhsa_exception_fp_ieee_invalid_op 0
		.amdhsa_exception_fp_denorm_src 0
		.amdhsa_exception_fp_ieee_div_zero 0
		.amdhsa_exception_fp_ieee_overflow 0
		.amdhsa_exception_fp_ieee_underflow 0
		.amdhsa_exception_fp_ieee_inexact 0
		.amdhsa_exception_int_div_zero 0
	.end_amdhsa_kernel
	.section	.text._ZL19rocblas_syr2_kernelILi128ELi8ELi1EPKdPKS1_PKPdEvbiT2_T3_lllS8_lllT4_llli,"axG",@progbits,_ZL19rocblas_syr2_kernelILi128ELi8ELi1EPKdPKS1_PKPdEvbiT2_T3_lllS8_lllT4_llli,comdat
.Lfunc_end10:
	.size	_ZL19rocblas_syr2_kernelILi128ELi8ELi1EPKdPKS1_PKPdEvbiT2_T3_lllS8_lllT4_llli, .Lfunc_end10-_ZL19rocblas_syr2_kernelILi128ELi8ELi1EPKdPKS1_PKPdEvbiT2_T3_lllS8_lllT4_llli
                                        ; -- End function
	.set _ZL19rocblas_syr2_kernelILi128ELi8ELi1EPKdPKS1_PKPdEvbiT2_T3_lllS8_lllT4_llli.num_vgpr, 15
	.set _ZL19rocblas_syr2_kernelILi128ELi8ELi1EPKdPKS1_PKPdEvbiT2_T3_lllS8_lllT4_llli.num_agpr, 0
	.set _ZL19rocblas_syr2_kernelILi128ELi8ELi1EPKdPKS1_PKPdEvbiT2_T3_lllS8_lllT4_llli.numbered_sgpr, 28
	.set _ZL19rocblas_syr2_kernelILi128ELi8ELi1EPKdPKS1_PKPdEvbiT2_T3_lllS8_lllT4_llli.num_named_barrier, 0
	.set _ZL19rocblas_syr2_kernelILi128ELi8ELi1EPKdPKS1_PKPdEvbiT2_T3_lllS8_lllT4_llli.private_seg_size, 0
	.set _ZL19rocblas_syr2_kernelILi128ELi8ELi1EPKdPKS1_PKPdEvbiT2_T3_lllS8_lllT4_llli.uses_vcc, 1
	.set _ZL19rocblas_syr2_kernelILi128ELi8ELi1EPKdPKS1_PKPdEvbiT2_T3_lllS8_lllT4_llli.uses_flat_scratch, 1
	.set _ZL19rocblas_syr2_kernelILi128ELi8ELi1EPKdPKS1_PKPdEvbiT2_T3_lllS8_lllT4_llli.has_dyn_sized_stack, 0
	.set _ZL19rocblas_syr2_kernelILi128ELi8ELi1EPKdPKS1_PKPdEvbiT2_T3_lllS8_lllT4_llli.has_recursion, 0
	.set _ZL19rocblas_syr2_kernelILi128ELi8ELi1EPKdPKS1_PKPdEvbiT2_T3_lllS8_lllT4_llli.has_indirect_call, 0
	.section	.AMDGPU.csdata,"",@progbits
; Kernel info:
; codeLenInByte = 776
; TotalNumSgprs: 30
; NumVgprs: 15
; ScratchSize: 0
; MemoryBound: 0
; FloatMode: 240
; IeeeMode: 1
; LDSByteSize: 0 bytes/workgroup (compile time only)
; SGPRBlocks: 0
; VGPRBlocks: 1
; NumSGPRsForWavesPerEU: 30
; NumVGPRsForWavesPerEU: 15
; Occupancy: 16
; WaveLimiterHint : 1
; COMPUTE_PGM_RSRC2:SCRATCH_EN: 0
; COMPUTE_PGM_RSRC2:USER_SGPR: 6
; COMPUTE_PGM_RSRC2:TRAP_HANDLER: 0
; COMPUTE_PGM_RSRC2:TGID_X_EN: 1
; COMPUTE_PGM_RSRC2:TGID_Y_EN: 1
; COMPUTE_PGM_RSRC2:TGID_Z_EN: 1
; COMPUTE_PGM_RSRC2:TIDIG_COMP_CNT: 1
	.section	.text._ZL19rocblas_syr2_kernelILi128ELi8ELi1EdPKPKdPKPdEvbiT2_T3_lllS8_lllT4_llli,"axG",@progbits,_ZL19rocblas_syr2_kernelILi128ELi8ELi1EdPKPKdPKPdEvbiT2_T3_lllS8_lllT4_llli,comdat
	.globl	_ZL19rocblas_syr2_kernelILi128ELi8ELi1EdPKPKdPKPdEvbiT2_T3_lllS8_lllT4_llli ; -- Begin function _ZL19rocblas_syr2_kernelILi128ELi8ELi1EdPKPKdPKPdEvbiT2_T3_lllS8_lllT4_llli
	.p2align	8
	.type	_ZL19rocblas_syr2_kernelILi128ELi8ELi1EdPKPKdPKPdEvbiT2_T3_lllS8_lllT4_llli,@function
_ZL19rocblas_syr2_kernelILi128ELi8ELi1EdPKPKdPKPdEvbiT2_T3_lllS8_lllT4_llli: ; @_ZL19rocblas_syr2_kernelILi128ELi8ELi1EdPKPKdPKPdEvbiT2_T3_lllS8_lllT4_llli
; %bb.0:
	s_clause 0x1
	s_load_dwordx8 s[12:19], s[4:5], 0x8
	s_load_dwordx2 s[0:1], s[4:5], 0x84
	s_waitcnt lgkmcnt(0)
	v_cmp_eq_f64_e64 s2, s[12:13], 0
	s_lshr_b32 s3, s0, 16
	s_and_b32 s0, s0, 0xffff
	s_and_b32 s1, s1, 0xffff
	s_mul_i32 s0, s3, s0
	s_mul_i32 s0, s0, s1
	s_cmpk_lg_i32 s0, 0x400
	s_cselect_b32 s0, -1, 0
	s_or_b32 s0, s2, s0
	s_and_b32 vcc_lo, exec_lo, s0
	s_cbranch_vccnz .LBB11_5
; %bb.1:
	s_clause 0x2
	s_load_dwordx2 s[24:25], s[4:5], 0x0
	s_load_dwordx4 s[0:3], s[4:5], 0x50
	s_load_dwordx4 s[20:23], s[4:5], 0x30
	s_mov_b32 s9, 0
	v_lshl_add_u32 v0, s6, 7, v0
	s_lshl_b64 s[26:27], s[8:9], 3
	v_lshl_add_u32 v2, s7, 3, v1
	s_waitcnt lgkmcnt(0)
	s_and_b32 s8, s24, 1
	s_add_u32 s10, s0, s26
	s_addc_u32 s11, s1, s27
	s_add_u32 s14, s14, s26
	s_addc_u32 s15, s15, s27
	;; [unrolled: 2-line block ×3, first 2 shown]
	s_cmp_eq_u32 s8, 0
	s_mov_b32 s0, -1
	s_cbranch_scc1 .LBB11_6
; %bb.2:
	s_andn2_b32 vcc_lo, exec_lo, s0
	s_cbranch_vccz .LBB11_7
.LBB11_3:
	s_and_saveexec_b32 s0, s9
	s_cbranch_execz .LBB11_5
.LBB11_4:
	s_clause 0x1
	s_load_dwordx2 s[0:1], s[4:5], 0x40
	s_load_dwordx2 s[4:5], s[4:5], 0x60
	;; [unrolled: 1-line block ×4, first 2 shown]
	v_ashrrev_i32_e32 v1, 31, v0
	s_load_dwordx2 s[6:7], s[6:7], 0x0
	v_ashrrev_i32_e32 v11, 31, v2
	v_mul_lo_u32 v9, s19, v2
	v_mad_u64_u32 v[5:6], null, s18, v2, 0
	v_mul_lo_u32 v13, s19, v0
	v_mad_u64_u32 v[7:8], null, s18, v0, 0
	v_mul_lo_u32 v14, s2, v11
	s_waitcnt lgkmcnt(0)
	v_mul_lo_u32 v10, s1, v0
	v_mul_lo_u32 v12, s0, v1
	v_mad_u64_u32 v[3:4], null, s0, v0, 0
	s_lshl_b64 s[4:5], s[4:5], 3
	s_add_u32 s8, s8, s4
	s_addc_u32 s9, s9, s5
	s_lshl_b64 s[4:5], s[16:17], 3
	v_add3_u32 v4, v4, v12, v10
	s_add_u32 s10, s10, s4
	s_addc_u32 s11, s11, s5
	s_lshl_b64 s[4:5], s[22:23], 3
	v_mul_lo_u32 v10, s18, v11
	v_lshlrev_b64 v[3:4], 3, v[3:4]
	s_add_u32 s4, s6, s4
	s_addc_u32 s5, s7, s5
	v_mul_lo_u32 v12, s18, v1
	v_lshlrev_b64 v[0:1], 3, v[0:1]
	v_add_co_u32 v3, vcc_lo, s4, v3
	v_add_co_ci_u32_e64 v4, null, s5, v4, vcc_lo
	v_add3_u32 v6, v6, v10, v9
	v_add3_u32 v8, v8, v12, v13
	v_mul_lo_u32 v12, s1, v2
	flat_load_dwordx2 v[3:4], v[3:4]
	v_mul_lo_u32 v13, s0, v11
	v_lshlrev_b64 v[5:6], 3, v[5:6]
	v_lshlrev_b64 v[7:8], 3, v[7:8]
	v_mad_u64_u32 v[9:10], null, s0, v2, 0
	v_add_co_u32 v5, vcc_lo, s10, v5
	v_add_co_ci_u32_e64 v6, null, s11, v6, vcc_lo
	v_add_co_u32 v7, vcc_lo, s10, v7
	v_add_co_ci_u32_e64 v8, null, s11, v8, vcc_lo
	s_clause 0x1
	flat_load_dwordx2 v[7:8], v[7:8]
	flat_load_dwordx2 v[5:6], v[5:6]
	v_add3_u32 v10, v10, v13, v12
	v_mul_lo_u32 v13, s3, v2
	v_mad_u64_u32 v[11:12], null, s2, v2, 0
	v_lshlrev_b64 v[9:10], 3, v[9:10]
	v_add3_u32 v12, v12, v14, v13
	v_add_co_u32 v9, vcc_lo, s4, v9
	v_add_co_ci_u32_e64 v10, null, s5, v10, vcc_lo
	v_lshlrev_b64 v[11:12], 3, v[11:12]
	flat_load_dwordx2 v[9:10], v[9:10]
	v_add_co_u32 v2, vcc_lo, s8, v11
	v_add_co_ci_u32_e64 v11, null, s9, v12, vcc_lo
	v_add_co_u32 v0, vcc_lo, v2, v0
	v_add_co_ci_u32_e64 v1, null, v11, v1, vcc_lo
	flat_load_dwordx2 v[11:12], v[0:1]
	s_waitcnt vmcnt(4) lgkmcnt(4)
	v_mul_f64 v[2:3], s[12:13], v[3:4]
	s_waitcnt vmcnt(3) lgkmcnt(3)
	v_mul_f64 v[7:8], s[12:13], v[7:8]
	s_waitcnt vmcnt(2) lgkmcnt(2)
	v_mul_f64 v[2:3], v[2:3], v[5:6]
	s_waitcnt vmcnt(1) lgkmcnt(1)
	v_fma_f64 v[2:3], v[7:8], v[9:10], v[2:3]
	s_waitcnt vmcnt(0) lgkmcnt(0)
	v_add_f64 v[2:3], v[11:12], v[2:3]
	flat_store_dwordx2 v[0:1], v[2:3]
.LBB11_5:
	s_endpgm
.LBB11_6:
	v_cmp_gt_i32_e32 vcc_lo, s25, v0
	v_cmp_le_i32_e64 s0, v2, v0
	s_and_b32 s1, s0, vcc_lo
	s_and_b32 s9, s1, exec_lo
	s_cbranch_execnz .LBB11_3
.LBB11_7:
	v_cmp_gt_i32_e32 vcc_lo, s25, v2
	v_cmp_le_i32_e64 s0, v0, v2
	s_andn2_b32 s1, s9, exec_lo
	s_and_b32 s0, s0, vcc_lo
	s_and_b32 s0, s0, exec_lo
	s_or_b32 s9, s1, s0
	s_and_saveexec_b32 s0, s9
	s_cbranch_execnz .LBB11_4
	s_branch .LBB11_5
	.section	.rodata,"a",@progbits
	.p2align	6, 0x0
	.amdhsa_kernel _ZL19rocblas_syr2_kernelILi128ELi8ELi1EdPKPKdPKPdEvbiT2_T3_lllS8_lllT4_llli
		.amdhsa_group_segment_fixed_size 0
		.amdhsa_private_segment_fixed_size 0
		.amdhsa_kernarg_size 376
		.amdhsa_user_sgpr_count 6
		.amdhsa_user_sgpr_private_segment_buffer 1
		.amdhsa_user_sgpr_dispatch_ptr 0
		.amdhsa_user_sgpr_queue_ptr 0
		.amdhsa_user_sgpr_kernarg_segment_ptr 1
		.amdhsa_user_sgpr_dispatch_id 0
		.amdhsa_user_sgpr_flat_scratch_init 0
		.amdhsa_user_sgpr_private_segment_size 0
		.amdhsa_wavefront_size32 1
		.amdhsa_uses_dynamic_stack 0
		.amdhsa_system_sgpr_private_segment_wavefront_offset 0
		.amdhsa_system_sgpr_workgroup_id_x 1
		.amdhsa_system_sgpr_workgroup_id_y 1
		.amdhsa_system_sgpr_workgroup_id_z 1
		.amdhsa_system_sgpr_workgroup_info 0
		.amdhsa_system_vgpr_workitem_id 1
		.amdhsa_next_free_vgpr 15
		.amdhsa_next_free_sgpr 28
		.amdhsa_reserve_vcc 1
		.amdhsa_reserve_flat_scratch 1
		.amdhsa_float_round_mode_32 0
		.amdhsa_float_round_mode_16_64 0
		.amdhsa_float_denorm_mode_32 3
		.amdhsa_float_denorm_mode_16_64 3
		.amdhsa_dx10_clamp 1
		.amdhsa_ieee_mode 1
		.amdhsa_fp16_overflow 0
		.amdhsa_workgroup_processor_mode 1
		.amdhsa_memory_ordered 1
		.amdhsa_forward_progress 1
		.amdhsa_shared_vgpr_count 0
		.amdhsa_exception_fp_ieee_invalid_op 0
		.amdhsa_exception_fp_denorm_src 0
		.amdhsa_exception_fp_ieee_div_zero 0
		.amdhsa_exception_fp_ieee_overflow 0
		.amdhsa_exception_fp_ieee_underflow 0
		.amdhsa_exception_fp_ieee_inexact 0
		.amdhsa_exception_int_div_zero 0
	.end_amdhsa_kernel
	.section	.text._ZL19rocblas_syr2_kernelILi128ELi8ELi1EdPKPKdPKPdEvbiT2_T3_lllS8_lllT4_llli,"axG",@progbits,_ZL19rocblas_syr2_kernelILi128ELi8ELi1EdPKPKdPKPdEvbiT2_T3_lllS8_lllT4_llli,comdat
.Lfunc_end11:
	.size	_ZL19rocblas_syr2_kernelILi128ELi8ELi1EdPKPKdPKPdEvbiT2_T3_lllS8_lllT4_llli, .Lfunc_end11-_ZL19rocblas_syr2_kernelILi128ELi8ELi1EdPKPKdPKPdEvbiT2_T3_lllS8_lllT4_llli
                                        ; -- End function
	.set _ZL19rocblas_syr2_kernelILi128ELi8ELi1EdPKPKdPKPdEvbiT2_T3_lllS8_lllT4_llli.num_vgpr, 15
	.set _ZL19rocblas_syr2_kernelILi128ELi8ELi1EdPKPKdPKPdEvbiT2_T3_lllS8_lllT4_llli.num_agpr, 0
	.set _ZL19rocblas_syr2_kernelILi128ELi8ELi1EdPKPKdPKPdEvbiT2_T3_lllS8_lllT4_llli.numbered_sgpr, 28
	.set _ZL19rocblas_syr2_kernelILi128ELi8ELi1EdPKPKdPKPdEvbiT2_T3_lllS8_lllT4_llli.num_named_barrier, 0
	.set _ZL19rocblas_syr2_kernelILi128ELi8ELi1EdPKPKdPKPdEvbiT2_T3_lllS8_lllT4_llli.private_seg_size, 0
	.set _ZL19rocblas_syr2_kernelILi128ELi8ELi1EdPKPKdPKPdEvbiT2_T3_lllS8_lllT4_llli.uses_vcc, 1
	.set _ZL19rocblas_syr2_kernelILi128ELi8ELi1EdPKPKdPKPdEvbiT2_T3_lllS8_lllT4_llli.uses_flat_scratch, 1
	.set _ZL19rocblas_syr2_kernelILi128ELi8ELi1EdPKPKdPKPdEvbiT2_T3_lllS8_lllT4_llli.has_dyn_sized_stack, 0
	.set _ZL19rocblas_syr2_kernelILi128ELi8ELi1EdPKPKdPKPdEvbiT2_T3_lllS8_lllT4_llli.has_recursion, 0
	.set _ZL19rocblas_syr2_kernelILi128ELi8ELi1EdPKPKdPKPdEvbiT2_T3_lllS8_lllT4_llli.has_indirect_call, 0
	.section	.AMDGPU.csdata,"",@progbits
; Kernel info:
; codeLenInByte = 768
; TotalNumSgprs: 30
; NumVgprs: 15
; ScratchSize: 0
; MemoryBound: 0
; FloatMode: 240
; IeeeMode: 1
; LDSByteSize: 0 bytes/workgroup (compile time only)
; SGPRBlocks: 0
; VGPRBlocks: 1
; NumSGPRsForWavesPerEU: 30
; NumVGPRsForWavesPerEU: 15
; Occupancy: 16
; WaveLimiterHint : 1
; COMPUTE_PGM_RSRC2:SCRATCH_EN: 0
; COMPUTE_PGM_RSRC2:USER_SGPR: 6
; COMPUTE_PGM_RSRC2:TRAP_HANDLER: 0
; COMPUTE_PGM_RSRC2:TGID_X_EN: 1
; COMPUTE_PGM_RSRC2:TGID_Y_EN: 1
; COMPUTE_PGM_RSRC2:TGID_Z_EN: 1
; COMPUTE_PGM_RSRC2:TIDIG_COMP_CNT: 1
	.section	.text._ZL19rocblas_syr2_kernelILi128ELi8ELi1EPK19rocblas_complex_numIfEPKS3_PKPS1_EvbiT2_T3_lllSA_lllT4_llli,"axG",@progbits,_ZL19rocblas_syr2_kernelILi128ELi8ELi1EPK19rocblas_complex_numIfEPKS3_PKPS1_EvbiT2_T3_lllSA_lllT4_llli,comdat
	.globl	_ZL19rocblas_syr2_kernelILi128ELi8ELi1EPK19rocblas_complex_numIfEPKS3_PKPS1_EvbiT2_T3_lllSA_lllT4_llli ; -- Begin function _ZL19rocblas_syr2_kernelILi128ELi8ELi1EPK19rocblas_complex_numIfEPKS3_PKPS1_EvbiT2_T3_lllSA_lllT4_llli
	.p2align	8
	.type	_ZL19rocblas_syr2_kernelILi128ELi8ELi1EPK19rocblas_complex_numIfEPKS3_PKPS1_EvbiT2_T3_lllSA_lllT4_llli,@function
_ZL19rocblas_syr2_kernelILi128ELi8ELi1EPK19rocblas_complex_numIfEPKS3_PKPS1_EvbiT2_T3_lllSA_lllT4_llli: ; @_ZL19rocblas_syr2_kernelILi128ELi8ELi1EPK19rocblas_complex_numIfEPKS3_PKPS1_EvbiT2_T3_lllSA_lllT4_llli
; %bb.0:
	s_load_dwordx2 s[0:1], s[4:5], 0x84
	s_waitcnt lgkmcnt(0)
	s_lshr_b32 s2, s0, 16
	s_and_b32 s0, s0, 0xffff
	s_and_b32 s1, s1, 0xffff
	s_mul_i32 s0, s2, s0
	s_mul_i32 s0, s0, s1
	s_cmpk_lg_i32 s0, 0x400
	s_cbranch_scc1 .LBB12_6
; %bb.1:
	s_load_dwordx8 s[12:19], s[4:5], 0x8
	s_mov_b32 s9, 0
	s_waitcnt lgkmcnt(0)
	s_load_dwordx2 s[10:11], s[12:13], 0x0
	s_waitcnt lgkmcnt(0)
	v_cmp_neq_f32_e64 s0, s10, 0
	v_cmp_neq_f32_e64 s1, s11, 0
	s_or_b32 s0, s0, s1
	s_andn2_b32 vcc_lo, exec_lo, s0
	s_cbranch_vccnz .LBB12_6
; %bb.2:
	s_clause 0x2
	s_load_dwordx2 s[26:27], s[4:5], 0x0
	s_load_dwordx4 s[0:3], s[4:5], 0x50
	s_load_dwordx4 s[20:23], s[4:5], 0x30
	s_lshl_b64 s[28:29], s[8:9], 3
	v_lshl_add_u32 v0, s6, 7, v0
	v_lshl_add_u32 v2, s7, 3, v1
	s_waitcnt lgkmcnt(0)
	s_and_b32 s8, s26, 1
	s_add_u32 s24, s0, s28
	s_addc_u32 s25, s1, s29
	s_add_u32 s12, s14, s28
	s_addc_u32 s13, s15, s29
	;; [unrolled: 2-line block ×3, first 2 shown]
	s_cmp_eq_u32 s8, 0
	s_mov_b32 s0, -1
	s_cbranch_scc1 .LBB12_7
; %bb.3:
	s_andn2_b32 vcc_lo, exec_lo, s0
	s_cbranch_vccz .LBB12_8
.LBB12_4:
	s_and_saveexec_b32 s0, s9
	s_cbranch_execz .LBB12_6
.LBB12_5:
	s_clause 0x1
	s_load_dwordx2 s[0:1], s[4:5], 0x60
	s_load_dwordx2 s[4:5], s[4:5], 0x40
	;; [unrolled: 1-line block ×3, first 2 shown]
	v_ashrrev_i32_e32 v1, 31, v0
	v_mul_lo_u32 v7, s19, v0
	v_mad_u64_u32 v[3:4], null, s18, v0, 0
	v_ashrrev_i32_e32 v11, 31, v2
	v_mul_lo_u32 v8, s18, v1
	s_load_dwordx2 s[12:13], s[12:13], 0x0
	s_load_dwordx2 s[6:7], s[6:7], 0x0
	v_mul_lo_u32 v12, s19, v2
	v_mad_u64_u32 v[5:6], null, s18, v2, 0
	v_mul_lo_u32 v13, s18, v11
	v_add3_u32 v4, v4, v8, v7
	s_waitcnt lgkmcnt(0)
	s_lshl_b64 s[0:1], s[0:1], 3
	v_mul_lo_u32 v9, s5, v2
	v_mul_lo_u32 v10, s4, v11
	v_mad_u64_u32 v[7:8], null, s4, v2, 0
	v_mul_lo_u32 v14, s5, v0
	v_mul_lo_u32 v15, s4, v1
	s_add_u32 s8, s8, s0
	v_lshlrev_b64 v[3:4], 3, v[3:4]
	s_addc_u32 s9, s9, s1
	s_lshl_b64 s[0:1], s[16:17], 3
	v_add3_u32 v8, v8, v10, v9
	v_mad_u64_u32 v[9:10], null, s4, v0, 0
	s_add_u32 s5, s12, s0
	s_addc_u32 s12, s13, s1
	s_lshl_b64 s[0:1], s[22:23], 3
	v_add_co_u32 v3, vcc_lo, s5, v3
	s_add_u32 s0, s6, s0
	v_add3_u32 v10, v10, v15, v14
	v_add3_u32 v6, v6, v13, v12
	s_addc_u32 s1, s7, s1
	v_add_co_ci_u32_e64 v4, null, s12, v4, vcc_lo
	v_lshlrev_b64 v[9:10], 3, v[9:10]
	v_mul_lo_u32 v13, s3, v2
	v_mul_lo_u32 v14, s2, v11
	v_mad_u64_u32 v[11:12], null, s2, v2, 0
	v_lshlrev_b64 v[7:8], 3, v[7:8]
	v_add_co_u32 v9, vcc_lo, s0, v9
	v_add_co_ci_u32_e64 v10, null, s1, v10, vcc_lo
	v_lshlrev_b64 v[5:6], 3, v[5:6]
	flat_load_dwordx2 v[2:3], v[3:4]
	v_add_co_u32 v7, vcc_lo, s0, v7
	flat_load_dwordx2 v[9:10], v[9:10]
	v_add3_u32 v12, v12, v14, v13
	v_add_co_ci_u32_e64 v8, null, s1, v8, vcc_lo
	v_add_co_u32 v4, vcc_lo, s5, v5
	v_add_co_ci_u32_e64 v5, null, s12, v6, vcc_lo
	v_lshlrev_b64 v[11:12], 3, v[11:12]
	flat_load_dwordx2 v[6:7], v[7:8]
	flat_load_dwordx2 v[4:5], v[4:5]
	v_lshlrev_b64 v[0:1], 3, v[0:1]
	v_add_co_u32 v8, vcc_lo, s8, v11
	v_add_co_ci_u32_e64 v11, null, s9, v12, vcc_lo
	v_add_co_u32 v0, vcc_lo, v8, v0
	v_add_co_ci_u32_e64 v1, null, v11, v1, vcc_lo
	flat_load_dwordx2 v[11:12], v[0:1]
	s_waitcnt vmcnt(4) lgkmcnt(4)
	v_mul_f32_e32 v8, s10, v3
	v_mul_f32_e32 v3, s11, v3
	s_waitcnt vmcnt(3) lgkmcnt(3)
	v_mul_f32_e32 v13, s10, v10
	v_mul_f32_e32 v10, s11, v10
	v_fmac_f32_e32 v8, s11, v2
	v_fma_f32 v2, s10, v2, -v3
	v_fmac_f32_e32 v13, s11, v9
	v_fma_f32 v9, s10, v9, -v10
	s_waitcnt vmcnt(2) lgkmcnt(2)
	v_mul_f32_e32 v3, v7, v8
	v_mul_f32_e32 v8, v6, v8
	s_waitcnt vmcnt(1) lgkmcnt(1)
	v_mul_f32_e32 v10, v5, v13
	v_mul_f32_e32 v13, v4, v13
	v_fma_f32 v3, v6, v2, -v3
	v_fmac_f32_e32 v8, v7, v2
	v_fma_f32 v2, v4, v9, -v10
	v_fmac_f32_e32 v13, v5, v9
	v_add_f32_e32 v2, v3, v2
	v_add_f32_e32 v3, v8, v13
	s_waitcnt vmcnt(0) lgkmcnt(0)
	v_add_f32_e32 v2, v11, v2
	v_add_f32_e32 v3, v12, v3
	flat_store_dwordx2 v[0:1], v[2:3]
.LBB12_6:
	s_endpgm
.LBB12_7:
	v_cmp_gt_i32_e32 vcc_lo, s27, v0
	v_cmp_le_i32_e64 s0, v2, v0
	s_and_b32 s1, s0, vcc_lo
	s_and_b32 s9, s1, exec_lo
	s_cbranch_execnz .LBB12_4
.LBB12_8:
	v_cmp_gt_i32_e32 vcc_lo, s27, v2
	v_cmp_le_i32_e64 s0, v0, v2
	s_andn2_b32 s1, s9, exec_lo
	s_and_b32 s0, s0, vcc_lo
	s_and_b32 s0, s0, exec_lo
	s_or_b32 s9, s1, s0
	s_and_saveexec_b32 s0, s9
	s_cbranch_execnz .LBB12_5
	s_branch .LBB12_6
	.section	.rodata,"a",@progbits
	.p2align	6, 0x0
	.amdhsa_kernel _ZL19rocblas_syr2_kernelILi128ELi8ELi1EPK19rocblas_complex_numIfEPKS3_PKPS1_EvbiT2_T3_lllSA_lllT4_llli
		.amdhsa_group_segment_fixed_size 0
		.amdhsa_private_segment_fixed_size 0
		.amdhsa_kernarg_size 376
		.amdhsa_user_sgpr_count 6
		.amdhsa_user_sgpr_private_segment_buffer 1
		.amdhsa_user_sgpr_dispatch_ptr 0
		.amdhsa_user_sgpr_queue_ptr 0
		.amdhsa_user_sgpr_kernarg_segment_ptr 1
		.amdhsa_user_sgpr_dispatch_id 0
		.amdhsa_user_sgpr_flat_scratch_init 0
		.amdhsa_user_sgpr_private_segment_size 0
		.amdhsa_wavefront_size32 1
		.amdhsa_uses_dynamic_stack 0
		.amdhsa_system_sgpr_private_segment_wavefront_offset 0
		.amdhsa_system_sgpr_workgroup_id_x 1
		.amdhsa_system_sgpr_workgroup_id_y 1
		.amdhsa_system_sgpr_workgroup_id_z 1
		.amdhsa_system_sgpr_workgroup_info 0
		.amdhsa_system_vgpr_workitem_id 1
		.amdhsa_next_free_vgpr 16
		.amdhsa_next_free_sgpr 30
		.amdhsa_reserve_vcc 1
		.amdhsa_reserve_flat_scratch 0
		.amdhsa_float_round_mode_32 0
		.amdhsa_float_round_mode_16_64 0
		.amdhsa_float_denorm_mode_32 3
		.amdhsa_float_denorm_mode_16_64 3
		.amdhsa_dx10_clamp 1
		.amdhsa_ieee_mode 1
		.amdhsa_fp16_overflow 0
		.amdhsa_workgroup_processor_mode 1
		.amdhsa_memory_ordered 1
		.amdhsa_forward_progress 1
		.amdhsa_shared_vgpr_count 0
		.amdhsa_exception_fp_ieee_invalid_op 0
		.amdhsa_exception_fp_denorm_src 0
		.amdhsa_exception_fp_ieee_div_zero 0
		.amdhsa_exception_fp_ieee_overflow 0
		.amdhsa_exception_fp_ieee_underflow 0
		.amdhsa_exception_fp_ieee_inexact 0
		.amdhsa_exception_int_div_zero 0
	.end_amdhsa_kernel
	.section	.text._ZL19rocblas_syr2_kernelILi128ELi8ELi1EPK19rocblas_complex_numIfEPKS3_PKPS1_EvbiT2_T3_lllSA_lllT4_llli,"axG",@progbits,_ZL19rocblas_syr2_kernelILi128ELi8ELi1EPK19rocblas_complex_numIfEPKS3_PKPS1_EvbiT2_T3_lllSA_lllT4_llli,comdat
.Lfunc_end12:
	.size	_ZL19rocblas_syr2_kernelILi128ELi8ELi1EPK19rocblas_complex_numIfEPKS3_PKPS1_EvbiT2_T3_lllSA_lllT4_llli, .Lfunc_end12-_ZL19rocblas_syr2_kernelILi128ELi8ELi1EPK19rocblas_complex_numIfEPKS3_PKPS1_EvbiT2_T3_lllSA_lllT4_llli
                                        ; -- End function
	.set _ZL19rocblas_syr2_kernelILi128ELi8ELi1EPK19rocblas_complex_numIfEPKS3_PKPS1_EvbiT2_T3_lllSA_lllT4_llli.num_vgpr, 16
	.set _ZL19rocblas_syr2_kernelILi128ELi8ELi1EPK19rocblas_complex_numIfEPKS3_PKPS1_EvbiT2_T3_lllSA_lllT4_llli.num_agpr, 0
	.set _ZL19rocblas_syr2_kernelILi128ELi8ELi1EPK19rocblas_complex_numIfEPKS3_PKPS1_EvbiT2_T3_lllSA_lllT4_llli.numbered_sgpr, 30
	.set _ZL19rocblas_syr2_kernelILi128ELi8ELi1EPK19rocblas_complex_numIfEPKS3_PKPS1_EvbiT2_T3_lllSA_lllT4_llli.num_named_barrier, 0
	.set _ZL19rocblas_syr2_kernelILi128ELi8ELi1EPK19rocblas_complex_numIfEPKS3_PKPS1_EvbiT2_T3_lllSA_lllT4_llli.private_seg_size, 0
	.set _ZL19rocblas_syr2_kernelILi128ELi8ELi1EPK19rocblas_complex_numIfEPKS3_PKPS1_EvbiT2_T3_lllSA_lllT4_llli.uses_vcc, 1
	.set _ZL19rocblas_syr2_kernelILi128ELi8ELi1EPK19rocblas_complex_numIfEPKS3_PKPS1_EvbiT2_T3_lllSA_lllT4_llli.uses_flat_scratch, 0
	.set _ZL19rocblas_syr2_kernelILi128ELi8ELi1EPK19rocblas_complex_numIfEPKS3_PKPS1_EvbiT2_T3_lllSA_lllT4_llli.has_dyn_sized_stack, 0
	.set _ZL19rocblas_syr2_kernelILi128ELi8ELi1EPK19rocblas_complex_numIfEPKS3_PKPS1_EvbiT2_T3_lllSA_lllT4_llli.has_recursion, 0
	.set _ZL19rocblas_syr2_kernelILi128ELi8ELi1EPK19rocblas_complex_numIfEPKS3_PKPS1_EvbiT2_T3_lllSA_lllT4_llli.has_indirect_call, 0
	.section	.AMDGPU.csdata,"",@progbits
; Kernel info:
; codeLenInByte = 840
; TotalNumSgprs: 32
; NumVgprs: 16
; ScratchSize: 0
; MemoryBound: 0
; FloatMode: 240
; IeeeMode: 1
; LDSByteSize: 0 bytes/workgroup (compile time only)
; SGPRBlocks: 0
; VGPRBlocks: 1
; NumSGPRsForWavesPerEU: 32
; NumVGPRsForWavesPerEU: 16
; Occupancy: 16
; WaveLimiterHint : 1
; COMPUTE_PGM_RSRC2:SCRATCH_EN: 0
; COMPUTE_PGM_RSRC2:USER_SGPR: 6
; COMPUTE_PGM_RSRC2:TRAP_HANDLER: 0
; COMPUTE_PGM_RSRC2:TGID_X_EN: 1
; COMPUTE_PGM_RSRC2:TGID_Y_EN: 1
; COMPUTE_PGM_RSRC2:TGID_Z_EN: 1
; COMPUTE_PGM_RSRC2:TIDIG_COMP_CNT: 1
	.section	.text._ZL19rocblas_syr2_kernelILi128ELi8ELi1E19rocblas_complex_numIfEPKPKS1_PKPS1_EvbiT2_T3_lllSA_lllT4_llli,"axG",@progbits,_ZL19rocblas_syr2_kernelILi128ELi8ELi1E19rocblas_complex_numIfEPKPKS1_PKPS1_EvbiT2_T3_lllSA_lllT4_llli,comdat
	.globl	_ZL19rocblas_syr2_kernelILi128ELi8ELi1E19rocblas_complex_numIfEPKPKS1_PKPS1_EvbiT2_T3_lllSA_lllT4_llli ; -- Begin function _ZL19rocblas_syr2_kernelILi128ELi8ELi1E19rocblas_complex_numIfEPKPKS1_PKPS1_EvbiT2_T3_lllSA_lllT4_llli
	.p2align	8
	.type	_ZL19rocblas_syr2_kernelILi128ELi8ELi1E19rocblas_complex_numIfEPKPKS1_PKPS1_EvbiT2_T3_lllSA_lllT4_llli,@function
_ZL19rocblas_syr2_kernelILi128ELi8ELi1E19rocblas_complex_numIfEPKPKS1_PKPS1_EvbiT2_T3_lllSA_lllT4_llli: ; @_ZL19rocblas_syr2_kernelILi128ELi8ELi1E19rocblas_complex_numIfEPKPKS1_PKPS1_EvbiT2_T3_lllSA_lllT4_llli
; %bb.0:
	s_load_dwordx2 s[0:1], s[4:5], 0x84
	s_waitcnt lgkmcnt(0)
	s_lshr_b32 s2, s0, 16
	s_and_b32 s0, s0, 0xffff
	s_and_b32 s1, s1, 0xffff
	s_mul_i32 s0, s2, s0
	s_mul_i32 s0, s0, s1
	s_cmpk_lg_i32 s0, 0x400
	s_cbranch_scc1 .LBB13_6
; %bb.1:
	s_load_dwordx2 s[10:11], s[4:5], 0x8
	s_mov_b32 s9, 0
	s_waitcnt lgkmcnt(0)
	v_cmp_neq_f32_e64 s0, s10, 0
	v_cmp_neq_f32_e64 s1, s11, 0
	s_or_b32 s0, s0, s1
	s_andn2_b32 vcc_lo, exec_lo, s0
	s_cbranch_vccnz .LBB13_6
; %bb.2:
	s_clause 0x3
	s_load_dwordx2 s[22:23], s[4:5], 0x0
	s_load_dwordx4 s[0:3], s[4:5], 0x50
	s_load_dwordx4 s[16:19], s[4:5], 0x10
	;; [unrolled: 1-line block ×3, first 2 shown]
	s_lshl_b64 s[24:25], s[8:9], 3
	v_lshl_add_u32 v0, s6, 7, v0
	v_lshl_add_u32 v2, s7, 3, v1
	s_waitcnt lgkmcnt(0)
	s_and_b32 s8, s22, 1
	s_add_u32 s20, s0, s24
	s_addc_u32 s21, s1, s25
	s_add_u32 s16, s16, s24
	s_addc_u32 s17, s17, s25
	s_add_u32 s6, s12, s24
	s_addc_u32 s7, s13, s25
	s_cmp_eq_u32 s8, 0
	s_mov_b32 s0, -1
	s_cbranch_scc1 .LBB13_7
; %bb.3:
	s_andn2_b32 vcc_lo, exec_lo, s0
	s_cbranch_vccz .LBB13_8
.LBB13_4:
	s_and_saveexec_b32 s0, s9
	s_cbranch_execz .LBB13_6
.LBB13_5:
	s_clause 0x2
	s_load_dwordx2 s[0:1], s[4:5], 0x60
	s_load_dwordx2 s[8:9], s[4:5], 0x40
	;; [unrolled: 1-line block ×5, first 2 shown]
	v_ashrrev_i32_e32 v11, 31, v2
	v_ashrrev_i32_e32 v1, 31, v0
	s_load_dwordx2 s[6:7], s[6:7], 0x0
	s_waitcnt lgkmcnt(0)
	s_lshl_b64 s[0:1], s[0:1], 3
	v_mul_lo_u32 v9, s9, v2
	v_mul_lo_u32 v10, s8, v11
	v_mad_u64_u32 v[3:4], null, s8, v2, 0
	v_mul_lo_u32 v14, s5, v0
	v_mul_lo_u32 v15, s4, v1
	v_mad_u64_u32 v[5:6], null, s4, v0, 0
	v_mul_lo_u32 v12, s5, v2
	v_mul_lo_u32 v13, s4, v11
	v_add3_u32 v4, v4, v10, v9
	v_mad_u64_u32 v[9:10], null, s8, v0, 0
	s_add_u32 s5, s12, s0
	v_add3_u32 v6, v6, v15, v14
	v_mul_lo_u32 v14, s9, v0
	v_mul_lo_u32 v15, s8, v1
	v_mad_u64_u32 v[7:8], null, s4, v2, 0
	v_lshlrev_b64 v[5:6], 3, v[5:6]
	s_addc_u32 s12, s13, s1
	s_lshl_b64 s[0:1], s[18:19], 3
	v_lshlrev_b64 v[3:4], 3, v[3:4]
	s_add_u32 s4, s16, s0
	v_add3_u32 v10, v10, v15, v14
	s_addc_u32 s13, s17, s1
	s_lshl_b64 s[0:1], s[14:15], 3
	v_add_co_u32 v5, vcc_lo, s4, v5
	v_lshlrev_b64 v[9:10], 3, v[9:10]
	s_add_u32 s0, s6, s0
	v_add3_u32 v8, v8, v13, v12
	s_addc_u32 s1, s7, s1
	v_add_co_ci_u32_e64 v6, null, s13, v6, vcc_lo
	v_add_co_u32 v9, vcc_lo, s0, v9
	v_mul_lo_u32 v13, s3, v2
	v_mul_lo_u32 v14, s2, v11
	v_mad_u64_u32 v[11:12], null, s2, v2, 0
	v_add_co_ci_u32_e64 v10, null, s1, v10, vcc_lo
	v_lshlrev_b64 v[7:8], 3, v[7:8]
	flat_load_dwordx2 v[5:6], v[5:6]
	v_add_co_u32 v2, vcc_lo, s0, v3
	flat_load_dwordx2 v[9:10], v[9:10]
	v_add3_u32 v12, v12, v14, v13
	v_add_co_ci_u32_e64 v3, null, s1, v4, vcc_lo
	v_add_co_u32 v7, vcc_lo, s4, v7
	v_add_co_ci_u32_e64 v8, null, s13, v8, vcc_lo
	v_lshlrev_b64 v[11:12], 3, v[11:12]
	flat_load_dwordx2 v[2:3], v[2:3]
	flat_load_dwordx2 v[7:8], v[7:8]
	v_lshlrev_b64 v[0:1], 3, v[0:1]
	v_add_co_u32 v4, vcc_lo, s5, v11
	v_add_co_ci_u32_e64 v11, null, s12, v12, vcc_lo
	v_add_co_u32 v0, vcc_lo, v4, v0
	v_add_co_ci_u32_e64 v1, null, v11, v1, vcc_lo
	flat_load_dwordx2 v[11:12], v[0:1]
	s_waitcnt vmcnt(4) lgkmcnt(4)
	v_mul_f32_e32 v4, s10, v6
	v_mul_f32_e32 v6, s11, v6
	s_waitcnt vmcnt(3) lgkmcnt(3)
	v_mul_f32_e32 v13, s10, v10
	v_mul_f32_e32 v10, s11, v10
	v_fmac_f32_e32 v4, s11, v5
	v_fma_f32 v5, s10, v5, -v6
	v_fmac_f32_e32 v13, s11, v9
	v_fma_f32 v6, s10, v9, -v10
	s_waitcnt vmcnt(2) lgkmcnt(2)
	v_mul_f32_e32 v9, v3, v4
	v_mul_f32_e32 v4, v2, v4
	s_waitcnt vmcnt(1) lgkmcnt(1)
	v_mul_f32_e32 v10, v8, v13
	v_mul_f32_e32 v13, v7, v13
	v_fma_f32 v2, v2, v5, -v9
	v_fmac_f32_e32 v4, v3, v5
	v_fma_f32 v3, v7, v6, -v10
	v_fmac_f32_e32 v13, v8, v6
	v_add_f32_e32 v2, v2, v3
	v_add_f32_e32 v3, v4, v13
	s_waitcnt vmcnt(0) lgkmcnt(0)
	v_add_f32_e32 v2, v11, v2
	v_add_f32_e32 v3, v12, v3
	flat_store_dwordx2 v[0:1], v[2:3]
.LBB13_6:
	s_endpgm
.LBB13_7:
	v_cmp_gt_i32_e32 vcc_lo, s23, v0
	v_cmp_le_i32_e64 s0, v2, v0
	s_and_b32 s1, s0, vcc_lo
	s_and_b32 s9, s1, exec_lo
	s_cbranch_execnz .LBB13_4
.LBB13_8:
	v_cmp_gt_i32_e32 vcc_lo, s23, v2
	v_cmp_le_i32_e64 s0, v0, v2
	s_andn2_b32 s1, s9, exec_lo
	s_and_b32 s0, s0, vcc_lo
	s_and_b32 s0, s0, exec_lo
	s_or_b32 s9, s1, s0
	s_and_saveexec_b32 s0, s9
	s_cbranch_execnz .LBB13_5
	s_branch .LBB13_6
	.section	.rodata,"a",@progbits
	.p2align	6, 0x0
	.amdhsa_kernel _ZL19rocblas_syr2_kernelILi128ELi8ELi1E19rocblas_complex_numIfEPKPKS1_PKPS1_EvbiT2_T3_lllSA_lllT4_llli
		.amdhsa_group_segment_fixed_size 0
		.amdhsa_private_segment_fixed_size 0
		.amdhsa_kernarg_size 376
		.amdhsa_user_sgpr_count 6
		.amdhsa_user_sgpr_private_segment_buffer 1
		.amdhsa_user_sgpr_dispatch_ptr 0
		.amdhsa_user_sgpr_queue_ptr 0
		.amdhsa_user_sgpr_kernarg_segment_ptr 1
		.amdhsa_user_sgpr_dispatch_id 0
		.amdhsa_user_sgpr_flat_scratch_init 0
		.amdhsa_user_sgpr_private_segment_size 0
		.amdhsa_wavefront_size32 1
		.amdhsa_uses_dynamic_stack 0
		.amdhsa_system_sgpr_private_segment_wavefront_offset 0
		.amdhsa_system_sgpr_workgroup_id_x 1
		.amdhsa_system_sgpr_workgroup_id_y 1
		.amdhsa_system_sgpr_workgroup_id_z 1
		.amdhsa_system_sgpr_workgroup_info 0
		.amdhsa_system_vgpr_workitem_id 1
		.amdhsa_next_free_vgpr 16
		.amdhsa_next_free_sgpr 26
		.amdhsa_reserve_vcc 1
		.amdhsa_reserve_flat_scratch 0
		.amdhsa_float_round_mode_32 0
		.amdhsa_float_round_mode_16_64 0
		.amdhsa_float_denorm_mode_32 3
		.amdhsa_float_denorm_mode_16_64 3
		.amdhsa_dx10_clamp 1
		.amdhsa_ieee_mode 1
		.amdhsa_fp16_overflow 0
		.amdhsa_workgroup_processor_mode 1
		.amdhsa_memory_ordered 1
		.amdhsa_forward_progress 1
		.amdhsa_shared_vgpr_count 0
		.amdhsa_exception_fp_ieee_invalid_op 0
		.amdhsa_exception_fp_denorm_src 0
		.amdhsa_exception_fp_ieee_div_zero 0
		.amdhsa_exception_fp_ieee_overflow 0
		.amdhsa_exception_fp_ieee_underflow 0
		.amdhsa_exception_fp_ieee_inexact 0
		.amdhsa_exception_int_div_zero 0
	.end_amdhsa_kernel
	.section	.text._ZL19rocblas_syr2_kernelILi128ELi8ELi1E19rocblas_complex_numIfEPKPKS1_PKPS1_EvbiT2_T3_lllSA_lllT4_llli,"axG",@progbits,_ZL19rocblas_syr2_kernelILi128ELi8ELi1E19rocblas_complex_numIfEPKPKS1_PKPS1_EvbiT2_T3_lllSA_lllT4_llli,comdat
.Lfunc_end13:
	.size	_ZL19rocblas_syr2_kernelILi128ELi8ELi1E19rocblas_complex_numIfEPKPKS1_PKPS1_EvbiT2_T3_lllSA_lllT4_llli, .Lfunc_end13-_ZL19rocblas_syr2_kernelILi128ELi8ELi1E19rocblas_complex_numIfEPKPKS1_PKPS1_EvbiT2_T3_lllSA_lllT4_llli
                                        ; -- End function
	.set _ZL19rocblas_syr2_kernelILi128ELi8ELi1E19rocblas_complex_numIfEPKPKS1_PKPS1_EvbiT2_T3_lllSA_lllT4_llli.num_vgpr, 16
	.set _ZL19rocblas_syr2_kernelILi128ELi8ELi1E19rocblas_complex_numIfEPKPKS1_PKPS1_EvbiT2_T3_lllSA_lllT4_llli.num_agpr, 0
	.set _ZL19rocblas_syr2_kernelILi128ELi8ELi1E19rocblas_complex_numIfEPKPKS1_PKPS1_EvbiT2_T3_lllSA_lllT4_llli.numbered_sgpr, 26
	.set _ZL19rocblas_syr2_kernelILi128ELi8ELi1E19rocblas_complex_numIfEPKPKS1_PKPS1_EvbiT2_T3_lllSA_lllT4_llli.num_named_barrier, 0
	.set _ZL19rocblas_syr2_kernelILi128ELi8ELi1E19rocblas_complex_numIfEPKPKS1_PKPS1_EvbiT2_T3_lllSA_lllT4_llli.private_seg_size, 0
	.set _ZL19rocblas_syr2_kernelILi128ELi8ELi1E19rocblas_complex_numIfEPKPKS1_PKPS1_EvbiT2_T3_lllSA_lllT4_llli.uses_vcc, 1
	.set _ZL19rocblas_syr2_kernelILi128ELi8ELi1E19rocblas_complex_numIfEPKPKS1_PKPS1_EvbiT2_T3_lllSA_lllT4_llli.uses_flat_scratch, 0
	.set _ZL19rocblas_syr2_kernelILi128ELi8ELi1E19rocblas_complex_numIfEPKPKS1_PKPS1_EvbiT2_T3_lllSA_lllT4_llli.has_dyn_sized_stack, 0
	.set _ZL19rocblas_syr2_kernelILi128ELi8ELi1E19rocblas_complex_numIfEPKPKS1_PKPS1_EvbiT2_T3_lllSA_lllT4_llli.has_recursion, 0
	.set _ZL19rocblas_syr2_kernelILi128ELi8ELi1E19rocblas_complex_numIfEPKPKS1_PKPS1_EvbiT2_T3_lllSA_lllT4_llli.has_indirect_call, 0
	.section	.AMDGPU.csdata,"",@progbits
; Kernel info:
; codeLenInByte = 844
; TotalNumSgprs: 28
; NumVgprs: 16
; ScratchSize: 0
; MemoryBound: 0
; FloatMode: 240
; IeeeMode: 1
; LDSByteSize: 0 bytes/workgroup (compile time only)
; SGPRBlocks: 0
; VGPRBlocks: 1
; NumSGPRsForWavesPerEU: 28
; NumVGPRsForWavesPerEU: 16
; Occupancy: 16
; WaveLimiterHint : 1
; COMPUTE_PGM_RSRC2:SCRATCH_EN: 0
; COMPUTE_PGM_RSRC2:USER_SGPR: 6
; COMPUTE_PGM_RSRC2:TRAP_HANDLER: 0
; COMPUTE_PGM_RSRC2:TGID_X_EN: 1
; COMPUTE_PGM_RSRC2:TGID_Y_EN: 1
; COMPUTE_PGM_RSRC2:TGID_Z_EN: 1
; COMPUTE_PGM_RSRC2:TIDIG_COMP_CNT: 1
	.section	.text._ZL19rocblas_syr2_kernelILi128ELi8ELi1EPK19rocblas_complex_numIdEPKS3_PKPS1_EvbiT2_T3_lllSA_lllT4_llli,"axG",@progbits,_ZL19rocblas_syr2_kernelILi128ELi8ELi1EPK19rocblas_complex_numIdEPKS3_PKPS1_EvbiT2_T3_lllSA_lllT4_llli,comdat
	.globl	_ZL19rocblas_syr2_kernelILi128ELi8ELi1EPK19rocblas_complex_numIdEPKS3_PKPS1_EvbiT2_T3_lllSA_lllT4_llli ; -- Begin function _ZL19rocblas_syr2_kernelILi128ELi8ELi1EPK19rocblas_complex_numIdEPKS3_PKPS1_EvbiT2_T3_lllSA_lllT4_llli
	.p2align	8
	.type	_ZL19rocblas_syr2_kernelILi128ELi8ELi1EPK19rocblas_complex_numIdEPKS3_PKPS1_EvbiT2_T3_lllSA_lllT4_llli,@function
_ZL19rocblas_syr2_kernelILi128ELi8ELi1EPK19rocblas_complex_numIdEPKS3_PKPS1_EvbiT2_T3_lllSA_lllT4_llli: ; @_ZL19rocblas_syr2_kernelILi128ELi8ELi1EPK19rocblas_complex_numIdEPKS3_PKPS1_EvbiT2_T3_lllSA_lllT4_llli
; %bb.0:
	s_load_dwordx2 s[0:1], s[4:5], 0x84
	s_waitcnt lgkmcnt(0)
	s_lshr_b32 s2, s0, 16
	s_and_b32 s0, s0, 0xffff
	s_and_b32 s1, s1, 0xffff
	s_mul_i32 s0, s2, s0
	s_mul_i32 s0, s0, s1
	s_cmpk_lg_i32 s0, 0x400
	s_cbranch_scc1 .LBB14_6
; %bb.1:
	s_load_dwordx8 s[12:19], s[4:5], 0x8
	s_waitcnt lgkmcnt(0)
	s_load_dwordx4 s[20:23], s[12:13], 0x0
	s_waitcnt lgkmcnt(0)
	v_cmp_neq_f64_e64 s0, s[20:21], 0
	v_cmp_neq_f64_e64 s1, s[22:23], 0
	s_or_b32 s0, s0, s1
	s_andn2_b32 vcc_lo, exec_lo, s0
	s_cbranch_vccnz .LBB14_6
; %bb.2:
	s_clause 0x2
	s_load_dwordx2 s[28:29], s[4:5], 0x0
	s_load_dwordx4 s[0:3], s[4:5], 0x50
	s_load_dwordx4 s[24:27], s[4:5], 0x30
	s_mov_b32 s9, 0
	v_lshl_add_u32 v0, s6, 7, v0
	s_lshl_b64 s[30:31], s[8:9], 3
	v_lshl_add_u32 v2, s7, 3, v1
	s_waitcnt lgkmcnt(0)
	s_and_b32 s8, s28, 1
	s_add_u32 s12, s0, s30
	s_addc_u32 s13, s1, s31
	s_add_u32 s10, s14, s30
	s_addc_u32 s11, s15, s31
	;; [unrolled: 2-line block ×3, first 2 shown]
	s_cmp_eq_u32 s8, 0
	s_mov_b32 s0, -1
	s_cbranch_scc1 .LBB14_7
; %bb.3:
	s_andn2_b32 vcc_lo, exec_lo, s0
	s_cbranch_vccz .LBB14_8
.LBB14_4:
	s_and_saveexec_b32 s0, s9
	s_cbranch_execz .LBB14_6
.LBB14_5:
	s_clause 0x1
	s_load_dwordx2 s[0:1], s[4:5], 0x40
	s_load_dwordx2 s[4:5], s[4:5], 0x60
	;; [unrolled: 1-line block ×3, first 2 shown]
	v_ashrrev_i32_e32 v1, 31, v0
	v_mul_lo_u32 v5, s19, v0
	v_mad_u64_u32 v[3:4], null, s18, v0, 0
	s_load_dwordx2 s[10:11], s[10:11], 0x0
	v_mul_lo_u32 v6, s18, v1
	s_load_dwordx2 s[6:7], s[6:7], 0x0
	v_ashrrev_i32_e32 v21, 31, v2
	v_mul_lo_u32 v17, s19, v2
	v_mad_u64_u32 v[13:14], null, s18, v2, 0
	v_mul_lo_u32 v22, s3, v2
	v_mul_lo_u32 v18, s18, v21
	v_add3_u32 v4, v4, v6, v5
	v_mad_u64_u32 v[19:20], null, s2, v2, 0
	s_waitcnt lgkmcnt(0)
	v_mul_lo_u32 v7, s1, v0
	v_mul_lo_u32 v8, s0, v1
	v_mad_u64_u32 v[5:6], null, s0, v0, 0
	s_lshl_b64 s[4:5], s[4:5], 4
	v_lshlrev_b64 v[3:4], 4, v[3:4]
	s_add_u32 s8, s8, s4
	s_addc_u32 s9, s9, s5
	s_lshl_b64 s[4:5], s[16:17], 4
	v_mul_lo_u32 v15, s1, v2
	v_add3_u32 v6, v6, v8, v7
	s_add_u32 s10, s10, s4
	s_addc_u32 s11, s11, s5
	s_lshl_b64 s[4:5], s[26:27], 4
	v_add_co_u32 v3, vcc_lo, s10, v3
	v_lshlrev_b64 v[5:6], 4, v[5:6]
	s_add_u32 s4, s6, s4
	v_add_co_ci_u32_e64 v4, null, s11, v4, vcc_lo
	s_addc_u32 s5, s7, s5
	v_mul_lo_u32 v16, s0, v21
	v_add_co_u32 v7, vcc_lo, s4, v5
	v_add_co_ci_u32_e64 v8, null, s5, v6, vcc_lo
	flat_load_dwordx4 v[3:6], v[3:4]
	flat_load_dwordx4 v[7:10], v[7:8]
	v_mad_u64_u32 v[11:12], null, s0, v2, 0
	v_add3_u32 v14, v14, v18, v17
	v_mul_lo_u32 v2, s2, v21
	v_lshlrev_b64 v[0:1], 4, v[0:1]
	v_lshlrev_b64 v[13:14], 4, v[13:14]
	v_add3_u32 v12, v12, v16, v15
	v_add3_u32 v20, v20, v2, v22
	v_lshlrev_b64 v[11:12], 4, v[11:12]
	v_lshlrev_b64 v[19:20], 4, v[19:20]
	v_add_co_u32 v11, vcc_lo, s4, v11
	v_add_co_ci_u32_e64 v12, null, s5, v12, vcc_lo
	v_add_co_u32 v15, vcc_lo, s10, v13
	v_add_co_ci_u32_e64 v16, null, s11, v14, vcc_lo
	flat_load_dwordx4 v[11:14], v[11:12]
	flat_load_dwordx4 v[15:18], v[15:16]
	v_add_co_u32 v2, vcc_lo, s8, v19
	v_add_co_ci_u32_e64 v19, null, s9, v20, vcc_lo
	v_add_co_u32 v23, vcc_lo, v2, v0
	v_add_co_ci_u32_e64 v24, null, v19, v1, vcc_lo
	flat_load_dwordx4 v[19:22], v[23:24]
	s_waitcnt vmcnt(4) lgkmcnt(4)
	v_mul_f64 v[0:1], s[20:21], v[5:6]
	s_waitcnt vmcnt(3) lgkmcnt(3)
	v_mul_f64 v[25:26], s[20:21], v[9:10]
	v_mul_f64 v[5:6], s[22:23], v[5:6]
	;; [unrolled: 1-line block ×3, first 2 shown]
	v_fma_f64 v[0:1], s[22:23], v[3:4], v[0:1]
	v_fma_f64 v[25:26], s[22:23], v[7:8], v[25:26]
	v_fma_f64 v[2:3], s[20:21], v[3:4], -v[5:6]
	v_fma_f64 v[4:5], s[20:21], v[7:8], -v[9:10]
	s_waitcnt vmcnt(2) lgkmcnt(2)
	v_mul_f64 v[6:7], v[13:14], v[0:1]
	v_mul_f64 v[0:1], v[11:12], v[0:1]
	s_waitcnt vmcnt(1) lgkmcnt(1)
	v_mul_f64 v[8:9], v[17:18], v[25:26]
	v_mul_f64 v[25:26], v[15:16], v[25:26]
	v_fma_f64 v[6:7], v[11:12], v[2:3], -v[6:7]
	v_fma_f64 v[0:1], v[13:14], v[2:3], v[0:1]
	v_fma_f64 v[2:3], v[15:16], v[4:5], -v[8:9]
	v_fma_f64 v[4:5], v[17:18], v[4:5], v[25:26]
	v_add_f64 v[2:3], v[6:7], v[2:3]
	v_add_f64 v[4:5], v[0:1], v[4:5]
	s_waitcnt vmcnt(0) lgkmcnt(0)
	v_add_f64 v[0:1], v[19:20], v[2:3]
	v_add_f64 v[2:3], v[21:22], v[4:5]
	flat_store_dwordx4 v[23:24], v[0:3]
.LBB14_6:
	s_endpgm
.LBB14_7:
	v_cmp_gt_i32_e32 vcc_lo, s29, v0
	v_cmp_le_i32_e64 s0, v2, v0
	s_and_b32 s1, s0, vcc_lo
	s_and_b32 s9, s1, exec_lo
	s_cbranch_execnz .LBB14_4
.LBB14_8:
	v_cmp_gt_i32_e32 vcc_lo, s29, v2
	v_cmp_le_i32_e64 s0, v0, v2
	s_andn2_b32 s1, s9, exec_lo
	s_and_b32 s0, s0, vcc_lo
	s_and_b32 s0, s0, exec_lo
	s_or_b32 s9, s1, s0
	s_and_saveexec_b32 s0, s9
	s_cbranch_execnz .LBB14_5
	s_branch .LBB14_6
	.section	.rodata,"a",@progbits
	.p2align	6, 0x0
	.amdhsa_kernel _ZL19rocblas_syr2_kernelILi128ELi8ELi1EPK19rocblas_complex_numIdEPKS3_PKPS1_EvbiT2_T3_lllSA_lllT4_llli
		.amdhsa_group_segment_fixed_size 0
		.amdhsa_private_segment_fixed_size 0
		.amdhsa_kernarg_size 376
		.amdhsa_user_sgpr_count 6
		.amdhsa_user_sgpr_private_segment_buffer 1
		.amdhsa_user_sgpr_dispatch_ptr 0
		.amdhsa_user_sgpr_queue_ptr 0
		.amdhsa_user_sgpr_kernarg_segment_ptr 1
		.amdhsa_user_sgpr_dispatch_id 0
		.amdhsa_user_sgpr_flat_scratch_init 0
		.amdhsa_user_sgpr_private_segment_size 0
		.amdhsa_wavefront_size32 1
		.amdhsa_uses_dynamic_stack 0
		.amdhsa_system_sgpr_private_segment_wavefront_offset 0
		.amdhsa_system_sgpr_workgroup_id_x 1
		.amdhsa_system_sgpr_workgroup_id_y 1
		.amdhsa_system_sgpr_workgroup_id_z 1
		.amdhsa_system_sgpr_workgroup_info 0
		.amdhsa_system_vgpr_workitem_id 1
		.amdhsa_next_free_vgpr 27
		.amdhsa_next_free_sgpr 32
		.amdhsa_reserve_vcc 1
		.amdhsa_reserve_flat_scratch 0
		.amdhsa_float_round_mode_32 0
		.amdhsa_float_round_mode_16_64 0
		.amdhsa_float_denorm_mode_32 3
		.amdhsa_float_denorm_mode_16_64 3
		.amdhsa_dx10_clamp 1
		.amdhsa_ieee_mode 1
		.amdhsa_fp16_overflow 0
		.amdhsa_workgroup_processor_mode 1
		.amdhsa_memory_ordered 1
		.amdhsa_forward_progress 1
		.amdhsa_shared_vgpr_count 0
		.amdhsa_exception_fp_ieee_invalid_op 0
		.amdhsa_exception_fp_denorm_src 0
		.amdhsa_exception_fp_ieee_div_zero 0
		.amdhsa_exception_fp_ieee_overflow 0
		.amdhsa_exception_fp_ieee_underflow 0
		.amdhsa_exception_fp_ieee_inexact 0
		.amdhsa_exception_int_div_zero 0
	.end_amdhsa_kernel
	.section	.text._ZL19rocblas_syr2_kernelILi128ELi8ELi1EPK19rocblas_complex_numIdEPKS3_PKPS1_EvbiT2_T3_lllSA_lllT4_llli,"axG",@progbits,_ZL19rocblas_syr2_kernelILi128ELi8ELi1EPK19rocblas_complex_numIdEPKS3_PKPS1_EvbiT2_T3_lllSA_lllT4_llli,comdat
.Lfunc_end14:
	.size	_ZL19rocblas_syr2_kernelILi128ELi8ELi1EPK19rocblas_complex_numIdEPKS3_PKPS1_EvbiT2_T3_lllSA_lllT4_llli, .Lfunc_end14-_ZL19rocblas_syr2_kernelILi128ELi8ELi1EPK19rocblas_complex_numIdEPKS3_PKPS1_EvbiT2_T3_lllSA_lllT4_llli
                                        ; -- End function
	.set _ZL19rocblas_syr2_kernelILi128ELi8ELi1EPK19rocblas_complex_numIdEPKS3_PKPS1_EvbiT2_T3_lllSA_lllT4_llli.num_vgpr, 27
	.set _ZL19rocblas_syr2_kernelILi128ELi8ELi1EPK19rocblas_complex_numIdEPKS3_PKPS1_EvbiT2_T3_lllSA_lllT4_llli.num_agpr, 0
	.set _ZL19rocblas_syr2_kernelILi128ELi8ELi1EPK19rocblas_complex_numIdEPKS3_PKPS1_EvbiT2_T3_lllSA_lllT4_llli.numbered_sgpr, 32
	.set _ZL19rocblas_syr2_kernelILi128ELi8ELi1EPK19rocblas_complex_numIdEPKS3_PKPS1_EvbiT2_T3_lllSA_lllT4_llli.num_named_barrier, 0
	.set _ZL19rocblas_syr2_kernelILi128ELi8ELi1EPK19rocblas_complex_numIdEPKS3_PKPS1_EvbiT2_T3_lllSA_lllT4_llli.private_seg_size, 0
	.set _ZL19rocblas_syr2_kernelILi128ELi8ELi1EPK19rocblas_complex_numIdEPKS3_PKPS1_EvbiT2_T3_lllSA_lllT4_llli.uses_vcc, 1
	.set _ZL19rocblas_syr2_kernelILi128ELi8ELi1EPK19rocblas_complex_numIdEPKS3_PKPS1_EvbiT2_T3_lllSA_lllT4_llli.uses_flat_scratch, 0
	.set _ZL19rocblas_syr2_kernelILi128ELi8ELi1EPK19rocblas_complex_numIdEPKS3_PKPS1_EvbiT2_T3_lllSA_lllT4_llli.has_dyn_sized_stack, 0
	.set _ZL19rocblas_syr2_kernelILi128ELi8ELi1EPK19rocblas_complex_numIdEPKS3_PKPS1_EvbiT2_T3_lllSA_lllT4_llli.has_recursion, 0
	.set _ZL19rocblas_syr2_kernelILi128ELi8ELi1EPK19rocblas_complex_numIdEPKS3_PKPS1_EvbiT2_T3_lllSA_lllT4_llli.has_indirect_call, 0
	.section	.AMDGPU.csdata,"",@progbits
; Kernel info:
; codeLenInByte = 904
; TotalNumSgprs: 34
; NumVgprs: 27
; ScratchSize: 0
; MemoryBound: 0
; FloatMode: 240
; IeeeMode: 1
; LDSByteSize: 0 bytes/workgroup (compile time only)
; SGPRBlocks: 0
; VGPRBlocks: 3
; NumSGPRsForWavesPerEU: 34
; NumVGPRsForWavesPerEU: 27
; Occupancy: 16
; WaveLimiterHint : 1
; COMPUTE_PGM_RSRC2:SCRATCH_EN: 0
; COMPUTE_PGM_RSRC2:USER_SGPR: 6
; COMPUTE_PGM_RSRC2:TRAP_HANDLER: 0
; COMPUTE_PGM_RSRC2:TGID_X_EN: 1
; COMPUTE_PGM_RSRC2:TGID_Y_EN: 1
; COMPUTE_PGM_RSRC2:TGID_Z_EN: 1
; COMPUTE_PGM_RSRC2:TIDIG_COMP_CNT: 1
	.section	.text._ZL19rocblas_syr2_kernelILi128ELi8ELi1E19rocblas_complex_numIdEPKPKS1_PKPS1_EvbiT2_T3_lllSA_lllT4_llli,"axG",@progbits,_ZL19rocblas_syr2_kernelILi128ELi8ELi1E19rocblas_complex_numIdEPKPKS1_PKPS1_EvbiT2_T3_lllSA_lllT4_llli,comdat
	.globl	_ZL19rocblas_syr2_kernelILi128ELi8ELi1E19rocblas_complex_numIdEPKPKS1_PKPS1_EvbiT2_T3_lllSA_lllT4_llli ; -- Begin function _ZL19rocblas_syr2_kernelILi128ELi8ELi1E19rocblas_complex_numIdEPKPKS1_PKPS1_EvbiT2_T3_lllSA_lllT4_llli
	.p2align	8
	.type	_ZL19rocblas_syr2_kernelILi128ELi8ELi1E19rocblas_complex_numIdEPKPKS1_PKPS1_EvbiT2_T3_lllSA_lllT4_llli,@function
_ZL19rocblas_syr2_kernelILi128ELi8ELi1E19rocblas_complex_numIdEPKPKS1_PKPS1_EvbiT2_T3_lllSA_lllT4_llli: ; @_ZL19rocblas_syr2_kernelILi128ELi8ELi1E19rocblas_complex_numIdEPKPKS1_PKPS1_EvbiT2_T3_lllSA_lllT4_llli
; %bb.0:
	s_load_dwordx2 s[0:1], s[4:5], 0x8c
	s_waitcnt lgkmcnt(0)
	s_lshr_b32 s2, s0, 16
	s_and_b32 s0, s0, 0xffff
	s_and_b32 s1, s1, 0xffff
	s_mul_i32 s0, s2, s0
	s_mul_i32 s0, s0, s1
	s_cmpk_lg_i32 s0, 0x400
	s_cbranch_scc1 .LBB15_6
; %bb.1:
	s_load_dwordx8 s[12:19], s[4:5], 0x8
	s_waitcnt lgkmcnt(0)
	v_cmp_neq_f64_e64 s0, s[12:13], 0
	v_cmp_neq_f64_e64 s1, s[14:15], 0
	s_or_b32 s0, s0, s1
	s_andn2_b32 vcc_lo, exec_lo, s0
	s_cbranch_vccnz .LBB15_6
; %bb.2:
	s_clause 0x3
	s_load_dwordx2 s[26:27], s[4:5], 0x0
	s_load_dwordx4 s[0:3], s[4:5], 0x58
	s_load_dwordx4 s[20:23], s[4:5], 0x38
	s_load_dwordx2 s[10:11], s[4:5], 0x28
	s_mov_b32 s9, 0
	v_lshl_add_u32 v0, s6, 7, v0
	s_lshl_b64 s[28:29], s[8:9], 3
	v_lshl_add_u32 v2, s7, 3, v1
	s_waitcnt lgkmcnt(0)
	s_and_b32 s8, s26, 1
	s_add_u32 s24, s0, s28
	s_addc_u32 s25, s1, s29
	s_add_u32 s16, s16, s28
	s_addc_u32 s17, s17, s29
	;; [unrolled: 2-line block ×3, first 2 shown]
	s_cmp_eq_u32 s8, 0
	s_mov_b32 s0, -1
	s_cbranch_scc1 .LBB15_7
; %bb.3:
	s_andn2_b32 vcc_lo, exec_lo, s0
	s_cbranch_vccz .LBB15_8
.LBB15_4:
	s_and_saveexec_b32 s0, s9
	s_cbranch_execz .LBB15_6
.LBB15_5:
	s_clause 0x1
	s_load_dwordx2 s[0:1], s[4:5], 0x48
	s_load_dwordx2 s[4:5], s[4:5], 0x68
	;; [unrolled: 1-line block ×3, first 2 shown]
	v_ashrrev_i32_e32 v1, 31, v0
	v_mul_lo_u32 v5, s11, v0
	v_mad_u64_u32 v[3:4], null, s10, v0, 0
	s_load_dwordx2 s[16:17], s[16:17], 0x0
	v_mul_lo_u32 v6, s10, v1
	s_load_dwordx2 s[6:7], s[6:7], 0x0
	v_ashrrev_i32_e32 v21, 31, v2
	v_mul_lo_u32 v17, s11, v2
	v_mad_u64_u32 v[13:14], null, s10, v2, 0
	v_mul_lo_u32 v22, s3, v2
	v_mul_lo_u32 v18, s10, v21
	v_add3_u32 v4, v4, v6, v5
	v_mad_u64_u32 v[19:20], null, s2, v2, 0
	s_waitcnt lgkmcnt(0)
	v_mul_lo_u32 v7, s1, v0
	v_mul_lo_u32 v8, s0, v1
	v_mad_u64_u32 v[5:6], null, s0, v0, 0
	s_lshl_b64 s[4:5], s[4:5], 4
	v_lshlrev_b64 v[3:4], 4, v[3:4]
	s_add_u32 s8, s8, s4
	s_addc_u32 s9, s9, s5
	s_lshl_b64 s[4:5], s[18:19], 4
	v_mul_lo_u32 v15, s1, v2
	v_add3_u32 v6, v6, v8, v7
	s_add_u32 s16, s16, s4
	s_addc_u32 s17, s17, s5
	s_lshl_b64 s[4:5], s[22:23], 4
	v_add_co_u32 v3, vcc_lo, s16, v3
	v_lshlrev_b64 v[5:6], 4, v[5:6]
	s_add_u32 s4, s6, s4
	v_add_co_ci_u32_e64 v4, null, s17, v4, vcc_lo
	s_addc_u32 s5, s7, s5
	v_mul_lo_u32 v16, s0, v21
	v_add_co_u32 v7, vcc_lo, s4, v5
	v_add_co_ci_u32_e64 v8, null, s5, v6, vcc_lo
	flat_load_dwordx4 v[3:6], v[3:4]
	flat_load_dwordx4 v[7:10], v[7:8]
	v_mad_u64_u32 v[11:12], null, s0, v2, 0
	v_add3_u32 v14, v14, v18, v17
	v_mul_lo_u32 v2, s2, v21
	v_lshlrev_b64 v[0:1], 4, v[0:1]
	v_lshlrev_b64 v[13:14], 4, v[13:14]
	v_add3_u32 v12, v12, v16, v15
	v_add3_u32 v20, v20, v2, v22
	v_lshlrev_b64 v[11:12], 4, v[11:12]
	v_lshlrev_b64 v[19:20], 4, v[19:20]
	v_add_co_u32 v11, vcc_lo, s4, v11
	v_add_co_ci_u32_e64 v12, null, s5, v12, vcc_lo
	v_add_co_u32 v15, vcc_lo, s16, v13
	v_add_co_ci_u32_e64 v16, null, s17, v14, vcc_lo
	flat_load_dwordx4 v[11:14], v[11:12]
	flat_load_dwordx4 v[15:18], v[15:16]
	v_add_co_u32 v2, vcc_lo, s8, v19
	v_add_co_ci_u32_e64 v19, null, s9, v20, vcc_lo
	v_add_co_u32 v23, vcc_lo, v2, v0
	v_add_co_ci_u32_e64 v24, null, v19, v1, vcc_lo
	flat_load_dwordx4 v[19:22], v[23:24]
	s_waitcnt vmcnt(4) lgkmcnt(4)
	v_mul_f64 v[0:1], s[12:13], v[5:6]
	s_waitcnt vmcnt(3) lgkmcnt(3)
	v_mul_f64 v[25:26], s[12:13], v[9:10]
	v_mul_f64 v[5:6], s[14:15], v[5:6]
	;; [unrolled: 1-line block ×3, first 2 shown]
	v_fma_f64 v[0:1], s[14:15], v[3:4], v[0:1]
	v_fma_f64 v[25:26], s[14:15], v[7:8], v[25:26]
	v_fma_f64 v[2:3], s[12:13], v[3:4], -v[5:6]
	v_fma_f64 v[4:5], s[12:13], v[7:8], -v[9:10]
	s_waitcnt vmcnt(2) lgkmcnt(2)
	v_mul_f64 v[6:7], v[13:14], v[0:1]
	v_mul_f64 v[0:1], v[11:12], v[0:1]
	s_waitcnt vmcnt(1) lgkmcnt(1)
	v_mul_f64 v[8:9], v[17:18], v[25:26]
	v_mul_f64 v[25:26], v[15:16], v[25:26]
	v_fma_f64 v[6:7], v[11:12], v[2:3], -v[6:7]
	v_fma_f64 v[0:1], v[13:14], v[2:3], v[0:1]
	v_fma_f64 v[2:3], v[15:16], v[4:5], -v[8:9]
	v_fma_f64 v[4:5], v[17:18], v[4:5], v[25:26]
	v_add_f64 v[2:3], v[6:7], v[2:3]
	v_add_f64 v[4:5], v[0:1], v[4:5]
	s_waitcnt vmcnt(0) lgkmcnt(0)
	v_add_f64 v[0:1], v[19:20], v[2:3]
	v_add_f64 v[2:3], v[21:22], v[4:5]
	flat_store_dwordx4 v[23:24], v[0:3]
.LBB15_6:
	s_endpgm
.LBB15_7:
	v_cmp_gt_i32_e32 vcc_lo, s27, v0
	v_cmp_le_i32_e64 s0, v2, v0
	s_and_b32 s1, s0, vcc_lo
	s_and_b32 s9, s1, exec_lo
	s_cbranch_execnz .LBB15_4
.LBB15_8:
	v_cmp_gt_i32_e32 vcc_lo, s27, v2
	v_cmp_le_i32_e64 s0, v0, v2
	s_andn2_b32 s1, s9, exec_lo
	s_and_b32 s0, s0, vcc_lo
	s_and_b32 s0, s0, exec_lo
	s_or_b32 s9, s1, s0
	s_and_saveexec_b32 s0, s9
	s_cbranch_execnz .LBB15_5
	s_branch .LBB15_6
	.section	.rodata,"a",@progbits
	.p2align	6, 0x0
	.amdhsa_kernel _ZL19rocblas_syr2_kernelILi128ELi8ELi1E19rocblas_complex_numIdEPKPKS1_PKPS1_EvbiT2_T3_lllSA_lllT4_llli
		.amdhsa_group_segment_fixed_size 0
		.amdhsa_private_segment_fixed_size 0
		.amdhsa_kernarg_size 384
		.amdhsa_user_sgpr_count 6
		.amdhsa_user_sgpr_private_segment_buffer 1
		.amdhsa_user_sgpr_dispatch_ptr 0
		.amdhsa_user_sgpr_queue_ptr 0
		.amdhsa_user_sgpr_kernarg_segment_ptr 1
		.amdhsa_user_sgpr_dispatch_id 0
		.amdhsa_user_sgpr_flat_scratch_init 0
		.amdhsa_user_sgpr_private_segment_size 0
		.amdhsa_wavefront_size32 1
		.amdhsa_uses_dynamic_stack 0
		.amdhsa_system_sgpr_private_segment_wavefront_offset 0
		.amdhsa_system_sgpr_workgroup_id_x 1
		.amdhsa_system_sgpr_workgroup_id_y 1
		.amdhsa_system_sgpr_workgroup_id_z 1
		.amdhsa_system_sgpr_workgroup_info 0
		.amdhsa_system_vgpr_workitem_id 1
		.amdhsa_next_free_vgpr 27
		.amdhsa_next_free_sgpr 30
		.amdhsa_reserve_vcc 1
		.amdhsa_reserve_flat_scratch 0
		.amdhsa_float_round_mode_32 0
		.amdhsa_float_round_mode_16_64 0
		.amdhsa_float_denorm_mode_32 3
		.amdhsa_float_denorm_mode_16_64 3
		.amdhsa_dx10_clamp 1
		.amdhsa_ieee_mode 1
		.amdhsa_fp16_overflow 0
		.amdhsa_workgroup_processor_mode 1
		.amdhsa_memory_ordered 1
		.amdhsa_forward_progress 1
		.amdhsa_shared_vgpr_count 0
		.amdhsa_exception_fp_ieee_invalid_op 0
		.amdhsa_exception_fp_denorm_src 0
		.amdhsa_exception_fp_ieee_div_zero 0
		.amdhsa_exception_fp_ieee_overflow 0
		.amdhsa_exception_fp_ieee_underflow 0
		.amdhsa_exception_fp_ieee_inexact 0
		.amdhsa_exception_int_div_zero 0
	.end_amdhsa_kernel
	.section	.text._ZL19rocblas_syr2_kernelILi128ELi8ELi1E19rocblas_complex_numIdEPKPKS1_PKPS1_EvbiT2_T3_lllSA_lllT4_llli,"axG",@progbits,_ZL19rocblas_syr2_kernelILi128ELi8ELi1E19rocblas_complex_numIdEPKPKS1_PKPS1_EvbiT2_T3_lllSA_lllT4_llli,comdat
.Lfunc_end15:
	.size	_ZL19rocblas_syr2_kernelILi128ELi8ELi1E19rocblas_complex_numIdEPKPKS1_PKPS1_EvbiT2_T3_lllSA_lllT4_llli, .Lfunc_end15-_ZL19rocblas_syr2_kernelILi128ELi8ELi1E19rocblas_complex_numIdEPKPKS1_PKPS1_EvbiT2_T3_lllSA_lllT4_llli
                                        ; -- End function
	.set _ZL19rocblas_syr2_kernelILi128ELi8ELi1E19rocblas_complex_numIdEPKPKS1_PKPS1_EvbiT2_T3_lllSA_lllT4_llli.num_vgpr, 27
	.set _ZL19rocblas_syr2_kernelILi128ELi8ELi1E19rocblas_complex_numIdEPKPKS1_PKPS1_EvbiT2_T3_lllSA_lllT4_llli.num_agpr, 0
	.set _ZL19rocblas_syr2_kernelILi128ELi8ELi1E19rocblas_complex_numIdEPKPKS1_PKPS1_EvbiT2_T3_lllSA_lllT4_llli.numbered_sgpr, 30
	.set _ZL19rocblas_syr2_kernelILi128ELi8ELi1E19rocblas_complex_numIdEPKPKS1_PKPS1_EvbiT2_T3_lllSA_lllT4_llli.num_named_barrier, 0
	.set _ZL19rocblas_syr2_kernelILi128ELi8ELi1E19rocblas_complex_numIdEPKPKS1_PKPS1_EvbiT2_T3_lllSA_lllT4_llli.private_seg_size, 0
	.set _ZL19rocblas_syr2_kernelILi128ELi8ELi1E19rocblas_complex_numIdEPKPKS1_PKPS1_EvbiT2_T3_lllSA_lllT4_llli.uses_vcc, 1
	.set _ZL19rocblas_syr2_kernelILi128ELi8ELi1E19rocblas_complex_numIdEPKPKS1_PKPS1_EvbiT2_T3_lllSA_lllT4_llli.uses_flat_scratch, 0
	.set _ZL19rocblas_syr2_kernelILi128ELi8ELi1E19rocblas_complex_numIdEPKPKS1_PKPS1_EvbiT2_T3_lllSA_lllT4_llli.has_dyn_sized_stack, 0
	.set _ZL19rocblas_syr2_kernelILi128ELi8ELi1E19rocblas_complex_numIdEPKPKS1_PKPS1_EvbiT2_T3_lllSA_lllT4_llli.has_recursion, 0
	.set _ZL19rocblas_syr2_kernelILi128ELi8ELi1E19rocblas_complex_numIdEPKPKS1_PKPS1_EvbiT2_T3_lllSA_lllT4_llli.has_indirect_call, 0
	.section	.AMDGPU.csdata,"",@progbits
; Kernel info:
; codeLenInByte = 900
; TotalNumSgprs: 32
; NumVgprs: 27
; ScratchSize: 0
; MemoryBound: 0
; FloatMode: 240
; IeeeMode: 1
; LDSByteSize: 0 bytes/workgroup (compile time only)
; SGPRBlocks: 0
; VGPRBlocks: 3
; NumSGPRsForWavesPerEU: 32
; NumVGPRsForWavesPerEU: 27
; Occupancy: 16
; WaveLimiterHint : 1
; COMPUTE_PGM_RSRC2:SCRATCH_EN: 0
; COMPUTE_PGM_RSRC2:USER_SGPR: 6
; COMPUTE_PGM_RSRC2:TRAP_HANDLER: 0
; COMPUTE_PGM_RSRC2:TGID_X_EN: 1
; COMPUTE_PGM_RSRC2:TGID_Y_EN: 1
; COMPUTE_PGM_RSRC2:TGID_Z_EN: 1
; COMPUTE_PGM_RSRC2:TIDIG_COMP_CNT: 1
	.section	.AMDGPU.gpr_maximums,"",@progbits
	.set amdgpu.max_num_vgpr, 0
	.set amdgpu.max_num_agpr, 0
	.set amdgpu.max_num_sgpr, 0
	.section	.AMDGPU.csdata,"",@progbits
	.type	__hip_cuid_b0327607917d4e2a,@object ; @__hip_cuid_b0327607917d4e2a
	.section	.bss,"aw",@nobits
	.globl	__hip_cuid_b0327607917d4e2a
__hip_cuid_b0327607917d4e2a:
	.byte	0                               ; 0x0
	.size	__hip_cuid_b0327607917d4e2a, 1

	.ident	"AMD clang version 22.0.0git (https://github.com/RadeonOpenCompute/llvm-project roc-7.2.4 26084 f58b06dce1f9c15707c5f808fd002e18c2accf7e)"
	.section	".note.GNU-stack","",@progbits
	.addrsig
	.addrsig_sym __hip_cuid_b0327607917d4e2a
	.amdgpu_metadata
---
amdhsa.kernels:
  - .args:
      - .offset:         0
        .size:           1
        .value_kind:     by_value
      - .offset:         4
        .size:           4
        .value_kind:     by_value
      - .address_space:  global
        .offset:         8
        .size:           8
        .value_kind:     global_buffer
      - .address_space:  global
        .offset:         16
        .size:           8
        .value_kind:     global_buffer
      - .offset:         24
        .size:           8
        .value_kind:     by_value
      - .offset:         32
        .size:           8
        .value_kind:     by_value
      - .offset:         40
        .size:           8
        .value_kind:     by_value
      - .address_space:  global
        .offset:         48
        .size:           8
        .value_kind:     global_buffer
      - .offset:         56
        .size:           8
        .value_kind:     by_value
      - .offset:         64
        .size:           8
        .value_kind:     by_value
      - .offset:         72
        .size:           8
        .value_kind:     by_value
      - .address_space:  global
        .offset:         80
        .size:           8
        .value_kind:     global_buffer
      - .offset:         88
        .size:           8
        .value_kind:     by_value
      - .offset:         96
        .size:           8
        .value_kind:     by_value
      - .offset:         104
        .size:           8
        .value_kind:     by_value
      - .offset:         112
        .size:           4
        .value_kind:     by_value
      - .offset:         120
        .size:           4
        .value_kind:     hidden_block_count_x
      - .offset:         124
        .size:           4
        .value_kind:     hidden_block_count_y
      - .offset:         128
        .size:           4
        .value_kind:     hidden_block_count_z
      - .offset:         132
        .size:           2
        .value_kind:     hidden_group_size_x
      - .offset:         134
        .size:           2
        .value_kind:     hidden_group_size_y
      - .offset:         136
        .size:           2
        .value_kind:     hidden_group_size_z
      - .offset:         138
        .size:           2
        .value_kind:     hidden_remainder_x
      - .offset:         140
        .size:           2
        .value_kind:     hidden_remainder_y
      - .offset:         142
        .size:           2
        .value_kind:     hidden_remainder_z
      - .offset:         160
        .size:           8
        .value_kind:     hidden_global_offset_x
      - .offset:         168
        .size:           8
        .value_kind:     hidden_global_offset_y
      - .offset:         176
        .size:           8
        .value_kind:     hidden_global_offset_z
      - .offset:         184
        .size:           2
        .value_kind:     hidden_grid_dims
    .group_segment_fixed_size: 0
    .kernarg_segment_align: 8
    .kernarg_segment_size: 376
    .language:       OpenCL C
    .language_version:
      - 2
      - 0
    .max_flat_workgroup_size: 1024
    .name:           _ZL19rocblas_syr2_kernelILi128ELi8ELi2EPKfS1_PfEvbiT2_T3_lllS4_lllT4_llli
    .private_segment_fixed_size: 0
    .sgpr_count:     46
    .sgpr_spill_count: 0
    .symbol:         _ZL19rocblas_syr2_kernelILi128ELi8ELi2EPKfS1_PfEvbiT2_T3_lllS4_lllT4_llli.kd
    .uniform_work_group_size: 1
    .uses_dynamic_stack: false
    .vgpr_count:     17
    .vgpr_spill_count: 0
    .wavefront_size: 32
    .workgroup_processor_mode: 1
  - .args:
      - .offset:         0
        .size:           1
        .value_kind:     by_value
      - .offset:         4
        .size:           4
        .value_kind:     by_value
      - .offset:         8
        .size:           4
        .value_kind:     by_value
      - .address_space:  global
        .offset:         16
        .size:           8
        .value_kind:     global_buffer
      - .offset:         24
        .size:           8
        .value_kind:     by_value
      - .offset:         32
        .size:           8
        .value_kind:     by_value
      - .offset:         40
        .size:           8
        .value_kind:     by_value
      - .address_space:  global
        .offset:         48
        .size:           8
        .value_kind:     global_buffer
      - .offset:         56
        .size:           8
        .value_kind:     by_value
      - .offset:         64
        .size:           8
        .value_kind:     by_value
      - .offset:         72
        .size:           8
        .value_kind:     by_value
      - .address_space:  global
        .offset:         80
        .size:           8
        .value_kind:     global_buffer
      - .offset:         88
        .size:           8
        .value_kind:     by_value
      - .offset:         96
        .size:           8
        .value_kind:     by_value
      - .offset:         104
        .size:           8
        .value_kind:     by_value
      - .offset:         112
        .size:           4
        .value_kind:     by_value
      - .offset:         120
        .size:           4
        .value_kind:     hidden_block_count_x
      - .offset:         124
        .size:           4
        .value_kind:     hidden_block_count_y
      - .offset:         128
        .size:           4
        .value_kind:     hidden_block_count_z
      - .offset:         132
        .size:           2
        .value_kind:     hidden_group_size_x
      - .offset:         134
        .size:           2
        .value_kind:     hidden_group_size_y
      - .offset:         136
        .size:           2
        .value_kind:     hidden_group_size_z
      - .offset:         138
        .size:           2
        .value_kind:     hidden_remainder_x
      - .offset:         140
        .size:           2
        .value_kind:     hidden_remainder_y
      - .offset:         142
        .size:           2
        .value_kind:     hidden_remainder_z
      - .offset:         160
        .size:           8
        .value_kind:     hidden_global_offset_x
      - .offset:         168
        .size:           8
        .value_kind:     hidden_global_offset_y
      - .offset:         176
        .size:           8
        .value_kind:     hidden_global_offset_z
      - .offset:         184
        .size:           2
        .value_kind:     hidden_grid_dims
    .group_segment_fixed_size: 0
    .kernarg_segment_align: 8
    .kernarg_segment_size: 376
    .language:       OpenCL C
    .language_version:
      - 2
      - 0
    .max_flat_workgroup_size: 1024
    .name:           _ZL19rocblas_syr2_kernelILi128ELi8ELi2EfPKfPfEvbiT2_T3_lllS4_lllT4_llli
    .private_segment_fixed_size: 0
    .sgpr_count:     46
    .sgpr_spill_count: 0
    .symbol:         _ZL19rocblas_syr2_kernelILi128ELi8ELi2EfPKfPfEvbiT2_T3_lllS4_lllT4_llli.kd
    .uniform_work_group_size: 1
    .uses_dynamic_stack: false
    .vgpr_count:     17
    .vgpr_spill_count: 0
    .wavefront_size: 32
    .workgroup_processor_mode: 1
  - .args:
      - .offset:         0
        .size:           1
        .value_kind:     by_value
      - .offset:         4
        .size:           4
        .value_kind:     by_value
      - .address_space:  global
        .offset:         8
        .size:           8
        .value_kind:     global_buffer
      - .address_space:  global
        .offset:         16
        .size:           8
        .value_kind:     global_buffer
      - .offset:         24
        .size:           8
        .value_kind:     by_value
      - .offset:         32
        .size:           8
        .value_kind:     by_value
      - .offset:         40
        .size:           8
        .value_kind:     by_value
      - .address_space:  global
        .offset:         48
        .size:           8
        .value_kind:     global_buffer
      - .offset:         56
        .size:           8
        .value_kind:     by_value
      - .offset:         64
        .size:           8
        .value_kind:     by_value
      - .offset:         72
        .size:           8
        .value_kind:     by_value
      - .address_space:  global
        .offset:         80
        .size:           8
        .value_kind:     global_buffer
      - .offset:         88
        .size:           8
        .value_kind:     by_value
      - .offset:         96
        .size:           8
        .value_kind:     by_value
      - .offset:         104
        .size:           8
        .value_kind:     by_value
      - .offset:         112
        .size:           4
        .value_kind:     by_value
      - .offset:         120
        .size:           4
        .value_kind:     hidden_block_count_x
      - .offset:         124
        .size:           4
        .value_kind:     hidden_block_count_y
      - .offset:         128
        .size:           4
        .value_kind:     hidden_block_count_z
      - .offset:         132
        .size:           2
        .value_kind:     hidden_group_size_x
      - .offset:         134
        .size:           2
        .value_kind:     hidden_group_size_y
      - .offset:         136
        .size:           2
        .value_kind:     hidden_group_size_z
      - .offset:         138
        .size:           2
        .value_kind:     hidden_remainder_x
      - .offset:         140
        .size:           2
        .value_kind:     hidden_remainder_y
      - .offset:         142
        .size:           2
        .value_kind:     hidden_remainder_z
      - .offset:         160
        .size:           8
        .value_kind:     hidden_global_offset_x
      - .offset:         168
        .size:           8
        .value_kind:     hidden_global_offset_y
      - .offset:         176
        .size:           8
        .value_kind:     hidden_global_offset_z
      - .offset:         184
        .size:           2
        .value_kind:     hidden_grid_dims
    .group_segment_fixed_size: 0
    .kernarg_segment_align: 8
    .kernarg_segment_size: 376
    .language:       OpenCL C
    .language_version:
      - 2
      - 0
    .max_flat_workgroup_size: 1024
    .name:           _ZL19rocblas_syr2_kernelILi128ELi8ELi1EPKdS1_PdEvbiT2_T3_lllS4_lllT4_llli
    .private_segment_fixed_size: 0
    .sgpr_count:     30
    .sgpr_spill_count: 0
    .symbol:         _ZL19rocblas_syr2_kernelILi128ELi8ELi1EPKdS1_PdEvbiT2_T3_lllS4_lllT4_llli.kd
    .uniform_work_group_size: 1
    .uses_dynamic_stack: false
    .vgpr_count:     15
    .vgpr_spill_count: 0
    .wavefront_size: 32
    .workgroup_processor_mode: 1
  - .args:
      - .offset:         0
        .size:           1
        .value_kind:     by_value
      - .offset:         4
        .size:           4
        .value_kind:     by_value
      - .offset:         8
        .size:           8
        .value_kind:     by_value
      - .address_space:  global
        .offset:         16
        .size:           8
        .value_kind:     global_buffer
      - .offset:         24
        .size:           8
        .value_kind:     by_value
      - .offset:         32
        .size:           8
        .value_kind:     by_value
      - .offset:         40
        .size:           8
        .value_kind:     by_value
      - .address_space:  global
        .offset:         48
        .size:           8
        .value_kind:     global_buffer
      - .offset:         56
        .size:           8
        .value_kind:     by_value
      - .offset:         64
        .size:           8
        .value_kind:     by_value
      - .offset:         72
        .size:           8
        .value_kind:     by_value
      - .address_space:  global
        .offset:         80
        .size:           8
        .value_kind:     global_buffer
      - .offset:         88
        .size:           8
        .value_kind:     by_value
      - .offset:         96
        .size:           8
        .value_kind:     by_value
      - .offset:         104
        .size:           8
        .value_kind:     by_value
      - .offset:         112
        .size:           4
        .value_kind:     by_value
      - .offset:         120
        .size:           4
        .value_kind:     hidden_block_count_x
      - .offset:         124
        .size:           4
        .value_kind:     hidden_block_count_y
      - .offset:         128
        .size:           4
        .value_kind:     hidden_block_count_z
      - .offset:         132
        .size:           2
        .value_kind:     hidden_group_size_x
      - .offset:         134
        .size:           2
        .value_kind:     hidden_group_size_y
      - .offset:         136
        .size:           2
        .value_kind:     hidden_group_size_z
      - .offset:         138
        .size:           2
        .value_kind:     hidden_remainder_x
      - .offset:         140
        .size:           2
        .value_kind:     hidden_remainder_y
      - .offset:         142
        .size:           2
        .value_kind:     hidden_remainder_z
      - .offset:         160
        .size:           8
        .value_kind:     hidden_global_offset_x
      - .offset:         168
        .size:           8
        .value_kind:     hidden_global_offset_y
      - .offset:         176
        .size:           8
        .value_kind:     hidden_global_offset_z
      - .offset:         184
        .size:           2
        .value_kind:     hidden_grid_dims
    .group_segment_fixed_size: 0
    .kernarg_segment_align: 8
    .kernarg_segment_size: 376
    .language:       OpenCL C
    .language_version:
      - 2
      - 0
    .max_flat_workgroup_size: 1024
    .name:           _ZL19rocblas_syr2_kernelILi128ELi8ELi1EdPKdPdEvbiT2_T3_lllS4_lllT4_llli
    .private_segment_fixed_size: 0
    .sgpr_count:     30
    .sgpr_spill_count: 0
    .symbol:         _ZL19rocblas_syr2_kernelILi128ELi8ELi1EdPKdPdEvbiT2_T3_lllS4_lllT4_llli.kd
    .uniform_work_group_size: 1
    .uses_dynamic_stack: false
    .vgpr_count:     15
    .vgpr_spill_count: 0
    .wavefront_size: 32
    .workgroup_processor_mode: 1
  - .args:
      - .offset:         0
        .size:           1
        .value_kind:     by_value
      - .offset:         4
        .size:           4
        .value_kind:     by_value
      - .address_space:  global
        .offset:         8
        .size:           8
        .value_kind:     global_buffer
      - .address_space:  global
        .offset:         16
        .size:           8
        .value_kind:     global_buffer
      - .offset:         24
        .size:           8
        .value_kind:     by_value
      - .offset:         32
        .size:           8
        .value_kind:     by_value
      - .offset:         40
        .size:           8
        .value_kind:     by_value
      - .address_space:  global
        .offset:         48
        .size:           8
        .value_kind:     global_buffer
      - .offset:         56
        .size:           8
        .value_kind:     by_value
      - .offset:         64
        .size:           8
        .value_kind:     by_value
      - .offset:         72
        .size:           8
        .value_kind:     by_value
      - .address_space:  global
        .offset:         80
        .size:           8
        .value_kind:     global_buffer
      - .offset:         88
        .size:           8
        .value_kind:     by_value
      - .offset:         96
        .size:           8
        .value_kind:     by_value
      - .offset:         104
        .size:           8
        .value_kind:     by_value
      - .offset:         112
        .size:           4
        .value_kind:     by_value
      - .offset:         120
        .size:           4
        .value_kind:     hidden_block_count_x
      - .offset:         124
        .size:           4
        .value_kind:     hidden_block_count_y
      - .offset:         128
        .size:           4
        .value_kind:     hidden_block_count_z
      - .offset:         132
        .size:           2
        .value_kind:     hidden_group_size_x
      - .offset:         134
        .size:           2
        .value_kind:     hidden_group_size_y
      - .offset:         136
        .size:           2
        .value_kind:     hidden_group_size_z
      - .offset:         138
        .size:           2
        .value_kind:     hidden_remainder_x
      - .offset:         140
        .size:           2
        .value_kind:     hidden_remainder_y
      - .offset:         142
        .size:           2
        .value_kind:     hidden_remainder_z
      - .offset:         160
        .size:           8
        .value_kind:     hidden_global_offset_x
      - .offset:         168
        .size:           8
        .value_kind:     hidden_global_offset_y
      - .offset:         176
        .size:           8
        .value_kind:     hidden_global_offset_z
      - .offset:         184
        .size:           2
        .value_kind:     hidden_grid_dims
    .group_segment_fixed_size: 0
    .kernarg_segment_align: 8
    .kernarg_segment_size: 376
    .language:       OpenCL C
    .language_version:
      - 2
      - 0
    .max_flat_workgroup_size: 1024
    .name:           _ZL19rocblas_syr2_kernelILi128ELi8ELi1EPK19rocblas_complex_numIfES3_PS1_EvbiT2_T3_lllS6_lllT4_llli
    .private_segment_fixed_size: 0
    .sgpr_count:     30
    .sgpr_spill_count: 0
    .symbol:         _ZL19rocblas_syr2_kernelILi128ELi8ELi1EPK19rocblas_complex_numIfES3_PS1_EvbiT2_T3_lllS6_lllT4_llli.kd
    .uniform_work_group_size: 1
    .uses_dynamic_stack: false
    .vgpr_count:     16
    .vgpr_spill_count: 0
    .wavefront_size: 32
    .workgroup_processor_mode: 1
  - .args:
      - .offset:         0
        .size:           1
        .value_kind:     by_value
      - .offset:         4
        .size:           4
        .value_kind:     by_value
      - .offset:         8
        .size:           8
        .value_kind:     by_value
      - .address_space:  global
        .offset:         16
        .size:           8
        .value_kind:     global_buffer
      - .offset:         24
        .size:           8
        .value_kind:     by_value
      - .offset:         32
        .size:           8
        .value_kind:     by_value
      - .offset:         40
        .size:           8
        .value_kind:     by_value
      - .address_space:  global
        .offset:         48
        .size:           8
        .value_kind:     global_buffer
      - .offset:         56
        .size:           8
        .value_kind:     by_value
      - .offset:         64
        .size:           8
        .value_kind:     by_value
      - .offset:         72
        .size:           8
        .value_kind:     by_value
      - .address_space:  global
        .offset:         80
        .size:           8
        .value_kind:     global_buffer
      - .offset:         88
        .size:           8
        .value_kind:     by_value
      - .offset:         96
        .size:           8
        .value_kind:     by_value
      - .offset:         104
        .size:           8
        .value_kind:     by_value
      - .offset:         112
        .size:           4
        .value_kind:     by_value
      - .offset:         120
        .size:           4
        .value_kind:     hidden_block_count_x
      - .offset:         124
        .size:           4
        .value_kind:     hidden_block_count_y
      - .offset:         128
        .size:           4
        .value_kind:     hidden_block_count_z
      - .offset:         132
        .size:           2
        .value_kind:     hidden_group_size_x
      - .offset:         134
        .size:           2
        .value_kind:     hidden_group_size_y
      - .offset:         136
        .size:           2
        .value_kind:     hidden_group_size_z
      - .offset:         138
        .size:           2
        .value_kind:     hidden_remainder_x
      - .offset:         140
        .size:           2
        .value_kind:     hidden_remainder_y
      - .offset:         142
        .size:           2
        .value_kind:     hidden_remainder_z
      - .offset:         160
        .size:           8
        .value_kind:     hidden_global_offset_x
      - .offset:         168
        .size:           8
        .value_kind:     hidden_global_offset_y
      - .offset:         176
        .size:           8
        .value_kind:     hidden_global_offset_z
      - .offset:         184
        .size:           2
        .value_kind:     hidden_grid_dims
    .group_segment_fixed_size: 0
    .kernarg_segment_align: 8
    .kernarg_segment_size: 376
    .language:       OpenCL C
    .language_version:
      - 2
      - 0
    .max_flat_workgroup_size: 1024
    .name:           _ZL19rocblas_syr2_kernelILi128ELi8ELi1E19rocblas_complex_numIfEPKS1_PS1_EvbiT2_T3_lllS6_lllT4_llli
    .private_segment_fixed_size: 0
    .sgpr_count:     46
    .sgpr_spill_count: 0
    .symbol:         _ZL19rocblas_syr2_kernelILi128ELi8ELi1E19rocblas_complex_numIfEPKS1_PS1_EvbiT2_T3_lllS6_lllT4_llli.kd
    .uniform_work_group_size: 1
    .uses_dynamic_stack: false
    .vgpr_count:     16
    .vgpr_spill_count: 0
    .wavefront_size: 32
    .workgroup_processor_mode: 1
  - .args:
      - .offset:         0
        .size:           1
        .value_kind:     by_value
      - .offset:         4
        .size:           4
        .value_kind:     by_value
      - .address_space:  global
        .offset:         8
        .size:           8
        .value_kind:     global_buffer
      - .address_space:  global
        .offset:         16
        .size:           8
        .value_kind:     global_buffer
      - .offset:         24
        .size:           8
        .value_kind:     by_value
      - .offset:         32
        .size:           8
        .value_kind:     by_value
      - .offset:         40
        .size:           8
        .value_kind:     by_value
      - .address_space:  global
        .offset:         48
        .size:           8
        .value_kind:     global_buffer
      - .offset:         56
        .size:           8
        .value_kind:     by_value
      - .offset:         64
        .size:           8
        .value_kind:     by_value
      - .offset:         72
        .size:           8
        .value_kind:     by_value
      - .address_space:  global
        .offset:         80
        .size:           8
        .value_kind:     global_buffer
      - .offset:         88
        .size:           8
        .value_kind:     by_value
      - .offset:         96
        .size:           8
        .value_kind:     by_value
      - .offset:         104
        .size:           8
        .value_kind:     by_value
      - .offset:         112
        .size:           4
        .value_kind:     by_value
      - .offset:         120
        .size:           4
        .value_kind:     hidden_block_count_x
      - .offset:         124
        .size:           4
        .value_kind:     hidden_block_count_y
      - .offset:         128
        .size:           4
        .value_kind:     hidden_block_count_z
      - .offset:         132
        .size:           2
        .value_kind:     hidden_group_size_x
      - .offset:         134
        .size:           2
        .value_kind:     hidden_group_size_y
      - .offset:         136
        .size:           2
        .value_kind:     hidden_group_size_z
      - .offset:         138
        .size:           2
        .value_kind:     hidden_remainder_x
      - .offset:         140
        .size:           2
        .value_kind:     hidden_remainder_y
      - .offset:         142
        .size:           2
        .value_kind:     hidden_remainder_z
      - .offset:         160
        .size:           8
        .value_kind:     hidden_global_offset_x
      - .offset:         168
        .size:           8
        .value_kind:     hidden_global_offset_y
      - .offset:         176
        .size:           8
        .value_kind:     hidden_global_offset_z
      - .offset:         184
        .size:           2
        .value_kind:     hidden_grid_dims
    .group_segment_fixed_size: 0
    .kernarg_segment_align: 8
    .kernarg_segment_size: 376
    .language:       OpenCL C
    .language_version:
      - 2
      - 0
    .max_flat_workgroup_size: 1024
    .name:           _ZL19rocblas_syr2_kernelILi128ELi8ELi1EPK19rocblas_complex_numIdES3_PS1_EvbiT2_T3_lllS6_lllT4_llli
    .private_segment_fixed_size: 0
    .sgpr_count:     34
    .sgpr_spill_count: 0
    .symbol:         _ZL19rocblas_syr2_kernelILi128ELi8ELi1EPK19rocblas_complex_numIdES3_PS1_EvbiT2_T3_lllS6_lllT4_llli.kd
    .uniform_work_group_size: 1
    .uses_dynamic_stack: false
    .vgpr_count:     27
    .vgpr_spill_count: 0
    .wavefront_size: 32
    .workgroup_processor_mode: 1
  - .args:
      - .offset:         0
        .size:           1
        .value_kind:     by_value
      - .offset:         4
        .size:           4
        .value_kind:     by_value
      - .offset:         8
        .size:           16
        .value_kind:     by_value
      - .address_space:  global
        .offset:         24
        .size:           8
        .value_kind:     global_buffer
      - .offset:         32
        .size:           8
        .value_kind:     by_value
      - .offset:         40
        .size:           8
        .value_kind:     by_value
      - .offset:         48
        .size:           8
        .value_kind:     by_value
      - .address_space:  global
        .offset:         56
        .size:           8
        .value_kind:     global_buffer
      - .offset:         64
        .size:           8
        .value_kind:     by_value
      - .offset:         72
        .size:           8
        .value_kind:     by_value
      - .offset:         80
        .size:           8
        .value_kind:     by_value
      - .address_space:  global
        .offset:         88
        .size:           8
        .value_kind:     global_buffer
      - .offset:         96
        .size:           8
        .value_kind:     by_value
      - .offset:         104
        .size:           8
        .value_kind:     by_value
      - .offset:         112
        .size:           8
        .value_kind:     by_value
      - .offset:         120
        .size:           4
        .value_kind:     by_value
      - .offset:         128
        .size:           4
        .value_kind:     hidden_block_count_x
      - .offset:         132
        .size:           4
        .value_kind:     hidden_block_count_y
      - .offset:         136
        .size:           4
        .value_kind:     hidden_block_count_z
      - .offset:         140
        .size:           2
        .value_kind:     hidden_group_size_x
      - .offset:         142
        .size:           2
        .value_kind:     hidden_group_size_y
      - .offset:         144
        .size:           2
        .value_kind:     hidden_group_size_z
      - .offset:         146
        .size:           2
        .value_kind:     hidden_remainder_x
      - .offset:         148
        .size:           2
        .value_kind:     hidden_remainder_y
      - .offset:         150
        .size:           2
        .value_kind:     hidden_remainder_z
      - .offset:         168
        .size:           8
        .value_kind:     hidden_global_offset_x
      - .offset:         176
        .size:           8
        .value_kind:     hidden_global_offset_y
      - .offset:         184
        .size:           8
        .value_kind:     hidden_global_offset_z
      - .offset:         192
        .size:           2
        .value_kind:     hidden_grid_dims
    .group_segment_fixed_size: 0
    .kernarg_segment_align: 8
    .kernarg_segment_size: 384
    .language:       OpenCL C
    .language_version:
      - 2
      - 0
    .max_flat_workgroup_size: 1024
    .name:           _ZL19rocblas_syr2_kernelILi128ELi8ELi1E19rocblas_complex_numIdEPKS1_PS1_EvbiT2_T3_lllS6_lllT4_llli
    .private_segment_fixed_size: 0
    .sgpr_count:     34
    .sgpr_spill_count: 0
    .symbol:         _ZL19rocblas_syr2_kernelILi128ELi8ELi1E19rocblas_complex_numIdEPKS1_PS1_EvbiT2_T3_lllS6_lllT4_llli.kd
    .uniform_work_group_size: 1
    .uses_dynamic_stack: false
    .vgpr_count:     27
    .vgpr_spill_count: 0
    .wavefront_size: 32
    .workgroup_processor_mode: 1
  - .args:
      - .offset:         0
        .size:           1
        .value_kind:     by_value
      - .offset:         4
        .size:           4
        .value_kind:     by_value
      - .address_space:  global
        .offset:         8
        .size:           8
        .value_kind:     global_buffer
      - .address_space:  global
        .offset:         16
        .size:           8
        .value_kind:     global_buffer
      - .offset:         24
        .size:           8
        .value_kind:     by_value
      - .offset:         32
        .size:           8
        .value_kind:     by_value
      - .offset:         40
        .size:           8
        .value_kind:     by_value
      - .address_space:  global
        .offset:         48
        .size:           8
        .value_kind:     global_buffer
      - .offset:         56
        .size:           8
        .value_kind:     by_value
      - .offset:         64
        .size:           8
        .value_kind:     by_value
      - .offset:         72
        .size:           8
        .value_kind:     by_value
      - .address_space:  global
        .offset:         80
        .size:           8
        .value_kind:     global_buffer
      - .offset:         88
        .size:           8
        .value_kind:     by_value
      - .offset:         96
        .size:           8
        .value_kind:     by_value
      - .offset:         104
        .size:           8
        .value_kind:     by_value
      - .offset:         112
        .size:           4
        .value_kind:     by_value
      - .offset:         120
        .size:           4
        .value_kind:     hidden_block_count_x
      - .offset:         124
        .size:           4
        .value_kind:     hidden_block_count_y
      - .offset:         128
        .size:           4
        .value_kind:     hidden_block_count_z
      - .offset:         132
        .size:           2
        .value_kind:     hidden_group_size_x
      - .offset:         134
        .size:           2
        .value_kind:     hidden_group_size_y
      - .offset:         136
        .size:           2
        .value_kind:     hidden_group_size_z
      - .offset:         138
        .size:           2
        .value_kind:     hidden_remainder_x
      - .offset:         140
        .size:           2
        .value_kind:     hidden_remainder_y
      - .offset:         142
        .size:           2
        .value_kind:     hidden_remainder_z
      - .offset:         160
        .size:           8
        .value_kind:     hidden_global_offset_x
      - .offset:         168
        .size:           8
        .value_kind:     hidden_global_offset_y
      - .offset:         176
        .size:           8
        .value_kind:     hidden_global_offset_z
      - .offset:         184
        .size:           2
        .value_kind:     hidden_grid_dims
    .group_segment_fixed_size: 0
    .kernarg_segment_align: 8
    .kernarg_segment_size: 376
    .language:       OpenCL C
    .language_version:
      - 2
      - 0
    .max_flat_workgroup_size: 1024
    .name:           _ZL19rocblas_syr2_kernelILi128ELi8ELi2EPKfPKS1_PKPfEvbiT2_T3_lllS8_lllT4_llli
    .private_segment_fixed_size: 0
    .sgpr_count:     30
    .sgpr_spill_count: 0
    .symbol:         _ZL19rocblas_syr2_kernelILi128ELi8ELi2EPKfPKS1_PKPfEvbiT2_T3_lllS8_lllT4_llli.kd
    .uniform_work_group_size: 1
    .uses_dynamic_stack: false
    .vgpr_count:     17
    .vgpr_spill_count: 0
    .wavefront_size: 32
    .workgroup_processor_mode: 1
  - .args:
      - .offset:         0
        .size:           1
        .value_kind:     by_value
      - .offset:         4
        .size:           4
        .value_kind:     by_value
      - .offset:         8
        .size:           4
        .value_kind:     by_value
      - .address_space:  global
        .offset:         16
        .size:           8
        .value_kind:     global_buffer
      - .offset:         24
        .size:           8
        .value_kind:     by_value
      - .offset:         32
        .size:           8
        .value_kind:     by_value
      - .offset:         40
        .size:           8
        .value_kind:     by_value
      - .address_space:  global
        .offset:         48
        .size:           8
        .value_kind:     global_buffer
      - .offset:         56
        .size:           8
        .value_kind:     by_value
      - .offset:         64
        .size:           8
        .value_kind:     by_value
      - .offset:         72
        .size:           8
        .value_kind:     by_value
      - .address_space:  global
        .offset:         80
        .size:           8
        .value_kind:     global_buffer
      - .offset:         88
        .size:           8
        .value_kind:     by_value
      - .offset:         96
        .size:           8
        .value_kind:     by_value
      - .offset:         104
        .size:           8
        .value_kind:     by_value
      - .offset:         112
        .size:           4
        .value_kind:     by_value
      - .offset:         120
        .size:           4
        .value_kind:     hidden_block_count_x
      - .offset:         124
        .size:           4
        .value_kind:     hidden_block_count_y
      - .offset:         128
        .size:           4
        .value_kind:     hidden_block_count_z
      - .offset:         132
        .size:           2
        .value_kind:     hidden_group_size_x
      - .offset:         134
        .size:           2
        .value_kind:     hidden_group_size_y
      - .offset:         136
        .size:           2
        .value_kind:     hidden_group_size_z
      - .offset:         138
        .size:           2
        .value_kind:     hidden_remainder_x
      - .offset:         140
        .size:           2
        .value_kind:     hidden_remainder_y
      - .offset:         142
        .size:           2
        .value_kind:     hidden_remainder_z
      - .offset:         160
        .size:           8
        .value_kind:     hidden_global_offset_x
      - .offset:         168
        .size:           8
        .value_kind:     hidden_global_offset_y
      - .offset:         176
        .size:           8
        .value_kind:     hidden_global_offset_z
      - .offset:         184
        .size:           2
        .value_kind:     hidden_grid_dims
    .group_segment_fixed_size: 0
    .kernarg_segment_align: 8
    .kernarg_segment_size: 376
    .language:       OpenCL C
    .language_version:
      - 2
      - 0
    .max_flat_workgroup_size: 1024
    .name:           _ZL19rocblas_syr2_kernelILi128ELi8ELi2EfPKPKfPKPfEvbiT2_T3_lllS8_lllT4_llli
    .private_segment_fixed_size: 0
    .sgpr_count:     30
    .sgpr_spill_count: 0
    .symbol:         _ZL19rocblas_syr2_kernelILi128ELi8ELi2EfPKPKfPKPfEvbiT2_T3_lllS8_lllT4_llli.kd
    .uniform_work_group_size: 1
    .uses_dynamic_stack: false
    .vgpr_count:     17
    .vgpr_spill_count: 0
    .wavefront_size: 32
    .workgroup_processor_mode: 1
  - .args:
      - .offset:         0
        .size:           1
        .value_kind:     by_value
      - .offset:         4
        .size:           4
        .value_kind:     by_value
      - .address_space:  global
        .offset:         8
        .size:           8
        .value_kind:     global_buffer
      - .address_space:  global
        .offset:         16
        .size:           8
        .value_kind:     global_buffer
      - .offset:         24
        .size:           8
        .value_kind:     by_value
      - .offset:         32
        .size:           8
        .value_kind:     by_value
      - .offset:         40
        .size:           8
        .value_kind:     by_value
      - .address_space:  global
        .offset:         48
        .size:           8
        .value_kind:     global_buffer
      - .offset:         56
        .size:           8
        .value_kind:     by_value
      - .offset:         64
        .size:           8
        .value_kind:     by_value
      - .offset:         72
        .size:           8
        .value_kind:     by_value
      - .address_space:  global
        .offset:         80
        .size:           8
        .value_kind:     global_buffer
      - .offset:         88
        .size:           8
        .value_kind:     by_value
      - .offset:         96
        .size:           8
        .value_kind:     by_value
      - .offset:         104
        .size:           8
        .value_kind:     by_value
      - .offset:         112
        .size:           4
        .value_kind:     by_value
      - .offset:         120
        .size:           4
        .value_kind:     hidden_block_count_x
      - .offset:         124
        .size:           4
        .value_kind:     hidden_block_count_y
      - .offset:         128
        .size:           4
        .value_kind:     hidden_block_count_z
      - .offset:         132
        .size:           2
        .value_kind:     hidden_group_size_x
      - .offset:         134
        .size:           2
        .value_kind:     hidden_group_size_y
      - .offset:         136
        .size:           2
        .value_kind:     hidden_group_size_z
      - .offset:         138
        .size:           2
        .value_kind:     hidden_remainder_x
      - .offset:         140
        .size:           2
        .value_kind:     hidden_remainder_y
      - .offset:         142
        .size:           2
        .value_kind:     hidden_remainder_z
      - .offset:         160
        .size:           8
        .value_kind:     hidden_global_offset_x
      - .offset:         168
        .size:           8
        .value_kind:     hidden_global_offset_y
      - .offset:         176
        .size:           8
        .value_kind:     hidden_global_offset_z
      - .offset:         184
        .size:           2
        .value_kind:     hidden_grid_dims
    .group_segment_fixed_size: 0
    .kernarg_segment_align: 8
    .kernarg_segment_size: 376
    .language:       OpenCL C
    .language_version:
      - 2
      - 0
    .max_flat_workgroup_size: 1024
    .name:           _ZL19rocblas_syr2_kernelILi128ELi8ELi1EPKdPKS1_PKPdEvbiT2_T3_lllS8_lllT4_llli
    .private_segment_fixed_size: 0
    .sgpr_count:     30
    .sgpr_spill_count: 0
    .symbol:         _ZL19rocblas_syr2_kernelILi128ELi8ELi1EPKdPKS1_PKPdEvbiT2_T3_lllS8_lllT4_llli.kd
    .uniform_work_group_size: 1
    .uses_dynamic_stack: false
    .vgpr_count:     15
    .vgpr_spill_count: 0
    .wavefront_size: 32
    .workgroup_processor_mode: 1
  - .args:
      - .offset:         0
        .size:           1
        .value_kind:     by_value
      - .offset:         4
        .size:           4
        .value_kind:     by_value
      - .offset:         8
        .size:           8
        .value_kind:     by_value
      - .address_space:  global
        .offset:         16
        .size:           8
        .value_kind:     global_buffer
      - .offset:         24
        .size:           8
        .value_kind:     by_value
      - .offset:         32
        .size:           8
        .value_kind:     by_value
      - .offset:         40
        .size:           8
        .value_kind:     by_value
      - .address_space:  global
        .offset:         48
        .size:           8
        .value_kind:     global_buffer
      - .offset:         56
        .size:           8
        .value_kind:     by_value
      - .offset:         64
        .size:           8
        .value_kind:     by_value
      - .offset:         72
        .size:           8
        .value_kind:     by_value
      - .address_space:  global
        .offset:         80
        .size:           8
        .value_kind:     global_buffer
      - .offset:         88
        .size:           8
        .value_kind:     by_value
      - .offset:         96
        .size:           8
        .value_kind:     by_value
      - .offset:         104
        .size:           8
        .value_kind:     by_value
      - .offset:         112
        .size:           4
        .value_kind:     by_value
      - .offset:         120
        .size:           4
        .value_kind:     hidden_block_count_x
      - .offset:         124
        .size:           4
        .value_kind:     hidden_block_count_y
      - .offset:         128
        .size:           4
        .value_kind:     hidden_block_count_z
      - .offset:         132
        .size:           2
        .value_kind:     hidden_group_size_x
      - .offset:         134
        .size:           2
        .value_kind:     hidden_group_size_y
      - .offset:         136
        .size:           2
        .value_kind:     hidden_group_size_z
      - .offset:         138
        .size:           2
        .value_kind:     hidden_remainder_x
      - .offset:         140
        .size:           2
        .value_kind:     hidden_remainder_y
      - .offset:         142
        .size:           2
        .value_kind:     hidden_remainder_z
      - .offset:         160
        .size:           8
        .value_kind:     hidden_global_offset_x
      - .offset:         168
        .size:           8
        .value_kind:     hidden_global_offset_y
      - .offset:         176
        .size:           8
        .value_kind:     hidden_global_offset_z
      - .offset:         184
        .size:           2
        .value_kind:     hidden_grid_dims
    .group_segment_fixed_size: 0
    .kernarg_segment_align: 8
    .kernarg_segment_size: 376
    .language:       OpenCL C
    .language_version:
      - 2
      - 0
    .max_flat_workgroup_size: 1024
    .name:           _ZL19rocblas_syr2_kernelILi128ELi8ELi1EdPKPKdPKPdEvbiT2_T3_lllS8_lllT4_llli
    .private_segment_fixed_size: 0
    .sgpr_count:     30
    .sgpr_spill_count: 0
    .symbol:         _ZL19rocblas_syr2_kernelILi128ELi8ELi1EdPKPKdPKPdEvbiT2_T3_lllS8_lllT4_llli.kd
    .uniform_work_group_size: 1
    .uses_dynamic_stack: false
    .vgpr_count:     15
    .vgpr_spill_count: 0
    .wavefront_size: 32
    .workgroup_processor_mode: 1
  - .args:
      - .offset:         0
        .size:           1
        .value_kind:     by_value
      - .offset:         4
        .size:           4
        .value_kind:     by_value
      - .address_space:  global
        .offset:         8
        .size:           8
        .value_kind:     global_buffer
      - .address_space:  global
        .offset:         16
        .size:           8
        .value_kind:     global_buffer
      - .offset:         24
        .size:           8
        .value_kind:     by_value
      - .offset:         32
        .size:           8
        .value_kind:     by_value
      - .offset:         40
        .size:           8
        .value_kind:     by_value
      - .address_space:  global
        .offset:         48
        .size:           8
        .value_kind:     global_buffer
      - .offset:         56
        .size:           8
        .value_kind:     by_value
      - .offset:         64
        .size:           8
        .value_kind:     by_value
      - .offset:         72
        .size:           8
        .value_kind:     by_value
      - .address_space:  global
        .offset:         80
        .size:           8
        .value_kind:     global_buffer
      - .offset:         88
        .size:           8
        .value_kind:     by_value
      - .offset:         96
        .size:           8
        .value_kind:     by_value
      - .offset:         104
        .size:           8
        .value_kind:     by_value
      - .offset:         112
        .size:           4
        .value_kind:     by_value
      - .offset:         120
        .size:           4
        .value_kind:     hidden_block_count_x
      - .offset:         124
        .size:           4
        .value_kind:     hidden_block_count_y
      - .offset:         128
        .size:           4
        .value_kind:     hidden_block_count_z
      - .offset:         132
        .size:           2
        .value_kind:     hidden_group_size_x
      - .offset:         134
        .size:           2
        .value_kind:     hidden_group_size_y
      - .offset:         136
        .size:           2
        .value_kind:     hidden_group_size_z
      - .offset:         138
        .size:           2
        .value_kind:     hidden_remainder_x
      - .offset:         140
        .size:           2
        .value_kind:     hidden_remainder_y
      - .offset:         142
        .size:           2
        .value_kind:     hidden_remainder_z
      - .offset:         160
        .size:           8
        .value_kind:     hidden_global_offset_x
      - .offset:         168
        .size:           8
        .value_kind:     hidden_global_offset_y
      - .offset:         176
        .size:           8
        .value_kind:     hidden_global_offset_z
      - .offset:         184
        .size:           2
        .value_kind:     hidden_grid_dims
    .group_segment_fixed_size: 0
    .kernarg_segment_align: 8
    .kernarg_segment_size: 376
    .language:       OpenCL C
    .language_version:
      - 2
      - 0
    .max_flat_workgroup_size: 1024
    .name:           _ZL19rocblas_syr2_kernelILi128ELi8ELi1EPK19rocblas_complex_numIfEPKS3_PKPS1_EvbiT2_T3_lllSA_lllT4_llli
    .private_segment_fixed_size: 0
    .sgpr_count:     32
    .sgpr_spill_count: 0
    .symbol:         _ZL19rocblas_syr2_kernelILi128ELi8ELi1EPK19rocblas_complex_numIfEPKS3_PKPS1_EvbiT2_T3_lllSA_lllT4_llli.kd
    .uniform_work_group_size: 1
    .uses_dynamic_stack: false
    .vgpr_count:     16
    .vgpr_spill_count: 0
    .wavefront_size: 32
    .workgroup_processor_mode: 1
  - .args:
      - .offset:         0
        .size:           1
        .value_kind:     by_value
      - .offset:         4
        .size:           4
        .value_kind:     by_value
      - .offset:         8
        .size:           8
        .value_kind:     by_value
      - .address_space:  global
        .offset:         16
        .size:           8
        .value_kind:     global_buffer
      - .offset:         24
        .size:           8
        .value_kind:     by_value
      - .offset:         32
        .size:           8
        .value_kind:     by_value
      - .offset:         40
        .size:           8
        .value_kind:     by_value
      - .address_space:  global
        .offset:         48
        .size:           8
        .value_kind:     global_buffer
      - .offset:         56
        .size:           8
        .value_kind:     by_value
      - .offset:         64
        .size:           8
        .value_kind:     by_value
      - .offset:         72
        .size:           8
        .value_kind:     by_value
      - .address_space:  global
        .offset:         80
        .size:           8
        .value_kind:     global_buffer
      - .offset:         88
        .size:           8
        .value_kind:     by_value
      - .offset:         96
        .size:           8
        .value_kind:     by_value
      - .offset:         104
        .size:           8
        .value_kind:     by_value
      - .offset:         112
        .size:           4
        .value_kind:     by_value
      - .offset:         120
        .size:           4
        .value_kind:     hidden_block_count_x
      - .offset:         124
        .size:           4
        .value_kind:     hidden_block_count_y
      - .offset:         128
        .size:           4
        .value_kind:     hidden_block_count_z
      - .offset:         132
        .size:           2
        .value_kind:     hidden_group_size_x
      - .offset:         134
        .size:           2
        .value_kind:     hidden_group_size_y
      - .offset:         136
        .size:           2
        .value_kind:     hidden_group_size_z
      - .offset:         138
        .size:           2
        .value_kind:     hidden_remainder_x
      - .offset:         140
        .size:           2
        .value_kind:     hidden_remainder_y
      - .offset:         142
        .size:           2
        .value_kind:     hidden_remainder_z
      - .offset:         160
        .size:           8
        .value_kind:     hidden_global_offset_x
      - .offset:         168
        .size:           8
        .value_kind:     hidden_global_offset_y
      - .offset:         176
        .size:           8
        .value_kind:     hidden_global_offset_z
      - .offset:         184
        .size:           2
        .value_kind:     hidden_grid_dims
    .group_segment_fixed_size: 0
    .kernarg_segment_align: 8
    .kernarg_segment_size: 376
    .language:       OpenCL C
    .language_version:
      - 2
      - 0
    .max_flat_workgroup_size: 1024
    .name:           _ZL19rocblas_syr2_kernelILi128ELi8ELi1E19rocblas_complex_numIfEPKPKS1_PKPS1_EvbiT2_T3_lllSA_lllT4_llli
    .private_segment_fixed_size: 0
    .sgpr_count:     28
    .sgpr_spill_count: 0
    .symbol:         _ZL19rocblas_syr2_kernelILi128ELi8ELi1E19rocblas_complex_numIfEPKPKS1_PKPS1_EvbiT2_T3_lllSA_lllT4_llli.kd
    .uniform_work_group_size: 1
    .uses_dynamic_stack: false
    .vgpr_count:     16
    .vgpr_spill_count: 0
    .wavefront_size: 32
    .workgroup_processor_mode: 1
  - .args:
      - .offset:         0
        .size:           1
        .value_kind:     by_value
      - .offset:         4
        .size:           4
        .value_kind:     by_value
      - .address_space:  global
        .offset:         8
        .size:           8
        .value_kind:     global_buffer
      - .address_space:  global
        .offset:         16
        .size:           8
        .value_kind:     global_buffer
      - .offset:         24
        .size:           8
        .value_kind:     by_value
      - .offset:         32
        .size:           8
        .value_kind:     by_value
      - .offset:         40
        .size:           8
        .value_kind:     by_value
      - .address_space:  global
        .offset:         48
        .size:           8
        .value_kind:     global_buffer
      - .offset:         56
        .size:           8
        .value_kind:     by_value
      - .offset:         64
        .size:           8
        .value_kind:     by_value
      - .offset:         72
        .size:           8
        .value_kind:     by_value
      - .address_space:  global
        .offset:         80
        .size:           8
        .value_kind:     global_buffer
      - .offset:         88
        .size:           8
        .value_kind:     by_value
      - .offset:         96
        .size:           8
        .value_kind:     by_value
      - .offset:         104
        .size:           8
        .value_kind:     by_value
      - .offset:         112
        .size:           4
        .value_kind:     by_value
      - .offset:         120
        .size:           4
        .value_kind:     hidden_block_count_x
      - .offset:         124
        .size:           4
        .value_kind:     hidden_block_count_y
      - .offset:         128
        .size:           4
        .value_kind:     hidden_block_count_z
      - .offset:         132
        .size:           2
        .value_kind:     hidden_group_size_x
      - .offset:         134
        .size:           2
        .value_kind:     hidden_group_size_y
      - .offset:         136
        .size:           2
        .value_kind:     hidden_group_size_z
      - .offset:         138
        .size:           2
        .value_kind:     hidden_remainder_x
      - .offset:         140
        .size:           2
        .value_kind:     hidden_remainder_y
      - .offset:         142
        .size:           2
        .value_kind:     hidden_remainder_z
      - .offset:         160
        .size:           8
        .value_kind:     hidden_global_offset_x
      - .offset:         168
        .size:           8
        .value_kind:     hidden_global_offset_y
      - .offset:         176
        .size:           8
        .value_kind:     hidden_global_offset_z
      - .offset:         184
        .size:           2
        .value_kind:     hidden_grid_dims
    .group_segment_fixed_size: 0
    .kernarg_segment_align: 8
    .kernarg_segment_size: 376
    .language:       OpenCL C
    .language_version:
      - 2
      - 0
    .max_flat_workgroup_size: 1024
    .name:           _ZL19rocblas_syr2_kernelILi128ELi8ELi1EPK19rocblas_complex_numIdEPKS3_PKPS1_EvbiT2_T3_lllSA_lllT4_llli
    .private_segment_fixed_size: 0
    .sgpr_count:     34
    .sgpr_spill_count: 0
    .symbol:         _ZL19rocblas_syr2_kernelILi128ELi8ELi1EPK19rocblas_complex_numIdEPKS3_PKPS1_EvbiT2_T3_lllSA_lllT4_llli.kd
    .uniform_work_group_size: 1
    .uses_dynamic_stack: false
    .vgpr_count:     27
    .vgpr_spill_count: 0
    .wavefront_size: 32
    .workgroup_processor_mode: 1
  - .args:
      - .offset:         0
        .size:           1
        .value_kind:     by_value
      - .offset:         4
        .size:           4
        .value_kind:     by_value
      - .offset:         8
        .size:           16
        .value_kind:     by_value
      - .address_space:  global
        .offset:         24
        .size:           8
        .value_kind:     global_buffer
      - .offset:         32
        .size:           8
        .value_kind:     by_value
      - .offset:         40
        .size:           8
        .value_kind:     by_value
      - .offset:         48
        .size:           8
        .value_kind:     by_value
      - .address_space:  global
        .offset:         56
        .size:           8
        .value_kind:     global_buffer
      - .offset:         64
        .size:           8
        .value_kind:     by_value
      - .offset:         72
        .size:           8
        .value_kind:     by_value
      - .offset:         80
        .size:           8
        .value_kind:     by_value
      - .address_space:  global
        .offset:         88
        .size:           8
        .value_kind:     global_buffer
      - .offset:         96
        .size:           8
        .value_kind:     by_value
      - .offset:         104
        .size:           8
        .value_kind:     by_value
      - .offset:         112
        .size:           8
        .value_kind:     by_value
      - .offset:         120
        .size:           4
        .value_kind:     by_value
      - .offset:         128
        .size:           4
        .value_kind:     hidden_block_count_x
      - .offset:         132
        .size:           4
        .value_kind:     hidden_block_count_y
      - .offset:         136
        .size:           4
        .value_kind:     hidden_block_count_z
      - .offset:         140
        .size:           2
        .value_kind:     hidden_group_size_x
      - .offset:         142
        .size:           2
        .value_kind:     hidden_group_size_y
      - .offset:         144
        .size:           2
        .value_kind:     hidden_group_size_z
      - .offset:         146
        .size:           2
        .value_kind:     hidden_remainder_x
      - .offset:         148
        .size:           2
        .value_kind:     hidden_remainder_y
      - .offset:         150
        .size:           2
        .value_kind:     hidden_remainder_z
      - .offset:         168
        .size:           8
        .value_kind:     hidden_global_offset_x
      - .offset:         176
        .size:           8
        .value_kind:     hidden_global_offset_y
      - .offset:         184
        .size:           8
        .value_kind:     hidden_global_offset_z
      - .offset:         192
        .size:           2
        .value_kind:     hidden_grid_dims
    .group_segment_fixed_size: 0
    .kernarg_segment_align: 8
    .kernarg_segment_size: 384
    .language:       OpenCL C
    .language_version:
      - 2
      - 0
    .max_flat_workgroup_size: 1024
    .name:           _ZL19rocblas_syr2_kernelILi128ELi8ELi1E19rocblas_complex_numIdEPKPKS1_PKPS1_EvbiT2_T3_lllSA_lllT4_llli
    .private_segment_fixed_size: 0
    .sgpr_count:     32
    .sgpr_spill_count: 0
    .symbol:         _ZL19rocblas_syr2_kernelILi128ELi8ELi1E19rocblas_complex_numIdEPKPKS1_PKPS1_EvbiT2_T3_lllSA_lllT4_llli.kd
    .uniform_work_group_size: 1
    .uses_dynamic_stack: false
    .vgpr_count:     27
    .vgpr_spill_count: 0
    .wavefront_size: 32
    .workgroup_processor_mode: 1
amdhsa.target:   amdgcn-amd-amdhsa--gfx1030
amdhsa.version:
  - 1
  - 2
...

	.end_amdgpu_metadata
